;; amdgpu-corpus repo=llvm/llvm-project kind=harvested arch=n/a opt=n/a
// NOTE: Assertions have been autogenerated by utils/update_mc_test_checks.py UTC_ARGS: --version 5
// RUN: llvm-mc -triple=amdgcn -mcpu=gfx1250 -show-encoding %s | FileCheck --check-prefix=GFX1250 %s
// RUN: not llvm-mc -triple=amdgcn -mcpu=gfx1250 -mattr=-wavefrontsize32,+wavefrontsize64 -filetype=null %s 2>&1 | FileCheck --check-prefix=WAVESIZE-ERR --implicit-check-not=error: --strict-whitespace %s
// RUN: not llvm-mc -triple=amdgcn -mcpu=gfx1200 -filetype=null %s 2>&1 | FileCheck --check-prefix=GFX12-ERR --implicit-check-not=error: --strict-whitespace %s

v_wmma_f32_16x16x4_f32 v[4:11], v[0:1], v[2:3], v[4:11]
// GFX12-ERR: :[[@LINE-1]]:1: error: instruction not supported on this GPU (gfx1200): v_wmma_f32_16x16x4_f32
// GFX1250: v_wmma_f32_16x16x4_f32 v[4:11], v[0:1], v[2:3], v[4:11] ; encoding: [0x04,0x00,0x5d,0xcc,0x00,0x05,0x12,0x1c]
// WAVESIZE-ERR: :[[@LINE-3]]:1: error: instruction requires wavesize=32

v_wmma_f32_16x16x4_f32 v[4:11], v[0:1], v[2:3], 1.0
// GFX12-ERR: :[[@LINE-1]]:1: error: instruction not supported on this GPU (gfx1200): v_wmma_f32_16x16x4_f32
// GFX1250: v_wmma_f32_16x16x4_f32 v[4:11], v[0:1], v[2:3], 1.0 ; encoding: [0x04,0x00,0x5d,0xcc,0x00,0x05,0xca,0x1b]
// WAVESIZE-ERR: :[[@LINE-3]]:1: error: instruction requires wavesize=32

v_wmma_f32_16x16x4_f32 v[4:11], v[0:1], v[2:3], 1.0 neg_lo:[0,0,1]
// GFX12-ERR: :[[@LINE-1]]:1: error: instruction not supported on this GPU (gfx1200): v_wmma_f32_16x16x4_f32
// GFX1250: v_wmma_f32_16x16x4_f32 v[4:11], v[0:1], v[2:3], 1.0 neg_lo:[0,0,1] ; encoding: [0x04,0x00,0x5d,0xcc,0x00,0x05,0xca,0x9b]
// WAVESIZE-ERR: :[[@LINE-3]]:1: error: instruction requires wavesize=32

v_wmma_f32_16x16x4_f32 v[4:11], v[0:1], v[2:3], v[4:11] neg_lo:[0,0,1]
// GFX12-ERR: :[[@LINE-1]]:1: error: instruction not supported on this GPU (gfx1200): v_wmma_f32_16x16x4_f32
// GFX1250: v_wmma_f32_16x16x4_f32 v[4:11], v[0:1], v[2:3], v[4:11] neg_lo:[0,0,1] ; encoding: [0x04,0x00,0x5d,0xcc,0x00,0x05,0x12,0x9c]
// WAVESIZE-ERR: :[[@LINE-3]]:1: error: instruction requires wavesize=32

v_wmma_f32_16x16x4_f32 v[4:11], v[0:1], v[2:3], v[4:11] neg_hi:[0,0,1]
// GFX12-ERR: :[[@LINE-1]]:1: error: instruction not supported on this GPU (gfx1200): v_wmma_f32_16x16x4_f32
// GFX1250: v_wmma_f32_16x16x4_f32 v[4:11], v[0:1], v[2:3], v[4:11] neg_hi:[0,0,1] ; encoding: [0x04,0x04,0x5d,0xcc,0x00,0x05,0x12,0x1c]
// WAVESIZE-ERR: :[[@LINE-3]]:1: error: instruction requires wavesize=32

v_wmma_f32_16x16x4_f32 v[4:11], v[0:1], v[2:3], v[4:11] matrix_a_reuse
// GFX12-ERR: :[[@LINE-1]]:1: error: instruction not supported on this GPU (gfx1200): v_wmma_f32_16x16x4_f32
// GFX1250: v_wmma_f32_16x16x4_f32 v[4:11], v[0:1], v[2:3], v[4:11] matrix_a_reuse ; encoding: [0x04,0x20,0x5d,0xcc,0x00,0x05,0x12,0x1c]
// WAVESIZE-ERR: :[[@LINE-3]]:1: error: instruction requires wavesize=32

v_wmma_f32_16x16x4_f32 v[4:11], v[0:1], v[2:3], v[4:11] matrix_b_reuse
// GFX12-ERR: :[[@LINE-1]]:1: error: instruction not supported on this GPU (gfx1200): v_wmma_f32_16x16x4_f32
// GFX1250: v_wmma_f32_16x16x4_f32 v[4:11], v[0:1], v[2:3], v[4:11] matrix_b_reuse ; encoding: [0x04,0x40,0x5d,0xcc,0x00,0x05,0x12,0x1c]
// WAVESIZE-ERR: :[[@LINE-3]]:1: error: instruction requires wavesize=32

v_wmma_f32_16x16x32_bf16 v[16:23], v[0:7], v[8:15], v[16:23]
// GFX12-ERR: :[[@LINE-1]]:1: error: instruction not supported on this GPU (gfx1200): v_wmma_f32_16x16x32_bf16
// GFX1250: v_wmma_f32_16x16x32_bf16 v[16:23], v[0:7], v[8:15], v[16:23] ; encoding: [0x10,0x00,0x62,0xcc,0x00,0x11,0x42,0x1c]
// WAVESIZE-ERR: :[[@LINE-3]]:1: error: instruction requires wavesize=32

v_wmma_f32_16x16x32_bf16 v[16:23], v[0:7], v[8:15], 1.0
// GFX12-ERR: :[[@LINE-1]]:1: error: instruction not supported on this GPU (gfx1200): v_wmma_f32_16x16x32_bf16
// GFX1250: v_wmma_f32_16x16x32_bf16 v[16:23], v[0:7], v[8:15], 1.0 ; encoding: [0x10,0x00,0x62,0xcc,0x00,0x11,0xca,0x1b]
// WAVESIZE-ERR: :[[@LINE-3]]:1: error: instruction requires wavesize=32

v_wmma_f32_16x16x32_bf16 v[16:23], v[0:7], v[8:15], 1.0 neg_lo:[0,0,1]
// GFX12-ERR: :[[@LINE-1]]:1: error: instruction not supported on this GPU (gfx1200): v_wmma_f32_16x16x32_bf16
// GFX1250: v_wmma_f32_16x16x32_bf16 v[16:23], v[0:7], v[8:15], 1.0 neg_lo:[0,0,1] ; encoding: [0x10,0x00,0x62,0xcc,0x00,0x11,0xca,0x9b]
// WAVESIZE-ERR: :[[@LINE-3]]:1: error: instruction requires wavesize=32

v_wmma_f32_16x16x32_bf16 v[16:23], v[0:7], v[8:15], v[16:23] neg_lo:[0,0,1] neg_hi:[0,0,1]
// GFX12-ERR: :[[@LINE-1]]:1: error: instruction not supported on this GPU (gfx1200): v_wmma_f32_16x16x32_bf16
// GFX1250: v_wmma_f32_16x16x32_bf16 v[16:23], v[0:7], v[8:15], v[16:23] neg_lo:[0,0,1] neg_hi:[0,0,1] ; encoding: [0x10,0x04,0x62,0xcc,0x00,0x11,0x42,0x9c]
// WAVESIZE-ERR: :[[@LINE-3]]:1: error: instruction requires wavesize=32

v_wmma_f32_16x16x32_bf16 v[16:23], v[0:7], v[8:15], v[16:23] neg_lo:[0,0,1]
// GFX12-ERR: :[[@LINE-1]]:1: error: instruction not supported on this GPU (gfx1200): v_wmma_f32_16x16x32_bf16
// GFX1250: v_wmma_f32_16x16x32_bf16 v[16:23], v[0:7], v[8:15], v[16:23] neg_lo:[0,0,1] ; encoding: [0x10,0x00,0x62,0xcc,0x00,0x11,0x42,0x9c]
// WAVESIZE-ERR: :[[@LINE-3]]:1: error: instruction requires wavesize=32

v_wmma_f32_16x16x32_bf16 v[16:23], v[0:7], v[8:15], v[16:23] neg_hi:[0,0,1]
// GFX12-ERR: :[[@LINE-1]]:1: error: instruction not supported on this GPU (gfx1200): v_wmma_f32_16x16x32_bf16
// GFX1250: v_wmma_f32_16x16x32_bf16 v[16:23], v[0:7], v[8:15], v[16:23] neg_hi:[0,0,1] ; encoding: [0x10,0x04,0x62,0xcc,0x00,0x11,0x42,0x1c]
// WAVESIZE-ERR: :[[@LINE-3]]:1: error: instruction requires wavesize=32

v_wmma_f32_16x16x32_bf16 v[16:23], v[0:7], v[8:15], v[16:23] matrix_a_reuse
// GFX12-ERR: :[[@LINE-1]]:1: error: instruction not supported on this GPU (gfx1200): v_wmma_f32_16x16x32_bf16
// GFX1250: v_wmma_f32_16x16x32_bf16 v[16:23], v[0:7], v[8:15], v[16:23] matrix_a_reuse ; encoding: [0x10,0x20,0x62,0xcc,0x00,0x11,0x42,0x1c]
// WAVESIZE-ERR: :[[@LINE-3]]:1: error: instruction requires wavesize=32

v_wmma_f32_16x16x32_bf16 v[16:23], v[0:7], v[8:15], v[16:23] matrix_b_reuse
// GFX12-ERR: :[[@LINE-1]]:1: error: instruction not supported on this GPU (gfx1200): v_wmma_f32_16x16x32_bf16
// GFX1250: v_wmma_f32_16x16x32_bf16 v[16:23], v[0:7], v[8:15], v[16:23] matrix_b_reuse ; encoding: [0x10,0x40,0x62,0xcc,0x00,0x11,0x42,0x1c]
// WAVESIZE-ERR: :[[@LINE-3]]:1: error: instruction requires wavesize=32

v_wmma_bf16_16x16x32_bf16 v[16:19], v[0:7], v[8:15], v[16:19]
// GFX12-ERR: :[[@LINE-1]]:1: error: instruction not supported on this GPU (gfx1200): v_wmma_bf16_16x16x32_bf16
// GFX1250: v_wmma_bf16_16x16x32_bf16 v[16:19], v[0:7], v[8:15], v[16:19] ; encoding: [0x10,0x00,0x63,0xcc,0x00,0x11,0x42,0x1c]
// WAVESIZE-ERR: :[[@LINE-3]]:1: error: instruction requires wavesize=32

v_wmma_bf16_16x16x32_bf16 v[16:19], v[0:7], v[8:15], 1.0
// GFX12-ERR: :[[@LINE-1]]:1: error: instruction not supported on this GPU (gfx1200): v_wmma_bf16_16x16x32_bf16
// GFX1250: v_wmma_bf16_16x16x32_bf16 v[16:19], v[0:7], v[8:15], 1.0 ; encoding: [0x10,0x00,0x63,0xcc,0x00,0x11,0xca,0x1b]
// WAVESIZE-ERR: :[[@LINE-3]]:1: error: instruction requires wavesize=32

v_wmma_bf16_16x16x32_bf16 v[16:19], v[0:7], v[8:15], 1.0 neg_lo:[0,0,1]
// GFX12-ERR: :[[@LINE-1]]:1: error: instruction not supported on this GPU (gfx1200): v_wmma_bf16_16x16x32_bf16
// GFX1250: v_wmma_bf16_16x16x32_bf16 v[16:19], v[0:7], v[8:15], 1.0 neg_lo:[0,0,1] ; encoding: [0x10,0x00,0x63,0xcc,0x00,0x11,0xca,0x9b]
// WAVESIZE-ERR: :[[@LINE-3]]:1: error: instruction requires wavesize=32

v_wmma_bf16_16x16x32_bf16 v[16:19], v[0:7], v[8:15], v[16:19] neg_lo:[0,0,1] neg_hi:[0,0,1]
// GFX12-ERR: :[[@LINE-1]]:1: error: instruction not supported on this GPU (gfx1200): v_wmma_bf16_16x16x32_bf16
// GFX1250: v_wmma_bf16_16x16x32_bf16 v[16:19], v[0:7], v[8:15], v[16:19] neg_lo:[0,0,1] neg_hi:[0,0,1] ; encoding: [0x10,0x04,0x63,0xcc,0x00,0x11,0x42,0x9c]
// WAVESIZE-ERR: :[[@LINE-3]]:1: error: instruction requires wavesize=32

v_wmma_bf16_16x16x32_bf16 v[16:19], v[0:7], v[8:15], v[16:19] neg_lo:[0,0,1]
// GFX12-ERR: :[[@LINE-1]]:1: error: instruction not supported on this GPU (gfx1200): v_wmma_bf16_16x16x32_bf16
// GFX1250: v_wmma_bf16_16x16x32_bf16 v[16:19], v[0:7], v[8:15], v[16:19] neg_lo:[0,0,1] ; encoding: [0x10,0x00,0x63,0xcc,0x00,0x11,0x42,0x9c]
// WAVESIZE-ERR: :[[@LINE-3]]:1: error: instruction requires wavesize=32

v_wmma_bf16_16x16x32_bf16 v[16:19], v[0:7], v[8:15], v[16:19] neg_hi:[0,0,1]
// GFX12-ERR: :[[@LINE-1]]:1: error: instruction not supported on this GPU (gfx1200): v_wmma_bf16_16x16x32_bf16
// GFX1250: v_wmma_bf16_16x16x32_bf16 v[16:19], v[0:7], v[8:15], v[16:19] neg_hi:[0,0,1] ; encoding: [0x10,0x04,0x63,0xcc,0x00,0x11,0x42,0x1c]
// WAVESIZE-ERR: :[[@LINE-3]]:1: error: instruction requires wavesize=32

v_wmma_bf16_16x16x32_bf16 v[16:19], v[0:7], v[8:15], v[16:19] matrix_a_reuse
// GFX12-ERR: :[[@LINE-1]]:1: error: instruction not supported on this GPU (gfx1200): v_wmma_bf16_16x16x32_bf16
// GFX1250: v_wmma_bf16_16x16x32_bf16 v[16:19], v[0:7], v[8:15], v[16:19] matrix_a_reuse ; encoding: [0x10,0x20,0x63,0xcc,0x00,0x11,0x42,0x1c]
// WAVESIZE-ERR: :[[@LINE-3]]:1: error: instruction requires wavesize=32

v_wmma_bf16_16x16x32_bf16 v[16:19], v[0:7], v[8:15], v[16:19] matrix_b_reuse
// GFX12-ERR: :[[@LINE-1]]:1: error: instruction not supported on this GPU (gfx1200): v_wmma_bf16_16x16x32_bf16
// GFX1250: v_wmma_bf16_16x16x32_bf16 v[16:19], v[0:7], v[8:15], v[16:19] matrix_b_reuse ; encoding: [0x10,0x40,0x63,0xcc,0x00,0x11,0x42,0x1c]
// WAVESIZE-ERR: :[[@LINE-3]]:1: error: instruction requires wavesize=32

v_wmma_bf16f32_16x16x32_bf16 v[26:29], v[0:7], v[8:15], v[16:23]
// GFX12-ERR: :[[@LINE-1]]:1: error: instruction not supported on this GPU (gfx1200): v_wmma_bf16f32_16x16x32_bf16
// GFX1250: v_wmma_bf16f32_16x16x32_bf16 v[26:29], v[0:7], v[8:15], v[16:23] ; encoding: [0x1a,0x00,0x64,0xcc,0x00,0x11,0x42,0x1c]
// WAVESIZE-ERR: :[[@LINE-3]]:1: error: instruction requires wavesize=32

v_wmma_bf16f32_16x16x32_bf16 v[26:29], v[0:7], v[8:15], 1.0
// GFX12-ERR: :[[@LINE-1]]:1: error: instruction not supported on this GPU (gfx1200): v_wmma_bf16f32_16x16x32_bf16
// GFX1250: v_wmma_bf16f32_16x16x32_bf16 v[26:29], v[0:7], v[8:15], 1.0 ; encoding: [0x1a,0x00,0x64,0xcc,0x00,0x11,0xca,0x1b]
// WAVESIZE-ERR: :[[@LINE-3]]:1: error: instruction requires wavesize=32

v_wmma_bf16f32_16x16x32_bf16 v[26:29], v[0:7], v[8:15], 1.0 neg_lo:[0,0,1]
// GFX12-ERR: :[[@LINE-1]]:1: error: instruction not supported on this GPU (gfx1200): v_wmma_bf16f32_16x16x32_bf16
// GFX1250: v_wmma_bf16f32_16x16x32_bf16 v[26:29], v[0:7], v[8:15], 1.0 neg_lo:[0,0,1] ; encoding: [0x1a,0x00,0x64,0xcc,0x00,0x11,0xca,0x9b]
// WAVESIZE-ERR: :[[@LINE-3]]:1: error: instruction requires wavesize=32

v_wmma_bf16f32_16x16x32_bf16 v[26:29], v[0:7], v[8:15], v[16:23] neg_lo:[0,0,1] neg_hi:[0,0,1]
// GFX12-ERR: :[[@LINE-1]]:1: error: instruction not supported on this GPU (gfx1200): v_wmma_bf16f32_16x16x32_bf16
// GFX1250: v_wmma_bf16f32_16x16x32_bf16 v[26:29], v[0:7], v[8:15], v[16:23] neg_lo:[0,0,1] neg_hi:[0,0,1] ; encoding: [0x1a,0x04,0x64,0xcc,0x00,0x11,0x42,0x9c]
// WAVESIZE-ERR: :[[@LINE-3]]:1: error: instruction requires wavesize=32

v_wmma_bf16f32_16x16x32_bf16 v[26:29], v[0:7], v[8:15], v[16:23] neg_lo:[0,0,1]
// GFX12-ERR: :[[@LINE-1]]:1: error: instruction not supported on this GPU (gfx1200): v_wmma_bf16f32_16x16x32_bf16
// GFX1250: v_wmma_bf16f32_16x16x32_bf16 v[26:29], v[0:7], v[8:15], v[16:23] neg_lo:[0,0,1] ; encoding: [0x1a,0x00,0x64,0xcc,0x00,0x11,0x42,0x9c]
// WAVESIZE-ERR: :[[@LINE-3]]:1: error: instruction requires wavesize=32

v_wmma_bf16f32_16x16x32_bf16 v[26:29], v[0:7], v[8:15], v[16:23] neg_hi:[0,0,1]
// GFX12-ERR: :[[@LINE-1]]:1: error: instruction not supported on this GPU (gfx1200): v_wmma_bf16f32_16x16x32_bf16
// GFX1250: v_wmma_bf16f32_16x16x32_bf16 v[26:29], v[0:7], v[8:15], v[16:23] neg_hi:[0,0,1] ; encoding: [0x1a,0x04,0x64,0xcc,0x00,0x11,0x42,0x1c]
// WAVESIZE-ERR: :[[@LINE-3]]:1: error: instruction requires wavesize=32

v_wmma_bf16f32_16x16x32_bf16 v[26:29], v[0:7], v[8:15], v[16:23] matrix_a_reuse
// GFX12-ERR: :[[@LINE-1]]:1: error: instruction not supported on this GPU (gfx1200): v_wmma_bf16f32_16x16x32_bf16
// GFX1250: v_wmma_bf16f32_16x16x32_bf16 v[26:29], v[0:7], v[8:15], v[16:23] matrix_a_reuse ; encoding: [0x1a,0x20,0x64,0xcc,0x00,0x11,0x42,0x1c]
// WAVESIZE-ERR: :[[@LINE-3]]:1: error: instruction requires wavesize=32

v_wmma_bf16f32_16x16x32_bf16 v[26:29], v[0:7], v[8:15], v[16:23] matrix_b_reuse
// GFX12-ERR: :[[@LINE-1]]:1: error: instruction not supported on this GPU (gfx1200): v_wmma_bf16f32_16x16x32_bf16
// GFX1250: v_wmma_bf16f32_16x16x32_bf16 v[26:29], v[0:7], v[8:15], v[16:23] matrix_b_reuse ; encoding: [0x1a,0x40,0x64,0xcc,0x00,0x11,0x42,0x1c]
// WAVESIZE-ERR: :[[@LINE-3]]:1: error: instruction requires wavesize=32

v_wmma_f32_16x16x64_fp8_fp8 v[16:23], v[0:7], v[8:15], v[16:23]
// GFX12-ERR: :[[@LINE-1]]:1: error: instruction not supported on this GPU (gfx1200): v_wmma_f32_16x16x64_fp8_fp8
// GFX1250: v_wmma_f32_16x16x64_fp8_fp8 v[16:23], v[0:7], v[8:15], v[16:23] ; encoding: [0x10,0x00,0x6a,0xcc,0x00,0x11,0x42,0x1c]
// WAVESIZE-ERR: :[[@LINE-3]]:1: error: instruction requires wavesize=32

v_wmma_f32_16x16x64_fp8_fp8 v[16:23], v[0:7], v[8:15], 1.0
// GFX12-ERR: :[[@LINE-1]]:1: error: instruction not supported on this GPU (gfx1200): v_wmma_f32_16x16x64_fp8_fp8
// GFX1250: v_wmma_f32_16x16x64_fp8_fp8 v[16:23], v[0:7], v[8:15], 1.0 ; encoding: [0x10,0x00,0x6a,0xcc,0x00,0x11,0xca,0x1b]
// WAVESIZE-ERR: :[[@LINE-3]]:1: error: instruction requires wavesize=32

v_wmma_f32_16x16x64_fp8_fp8 v[16:23], v[0:7], v[8:15], 1.0 neg_lo:[0,0,1]
// GFX12-ERR: :[[@LINE-1]]:1: error: instruction not supported on this GPU (gfx1200): v_wmma_f32_16x16x64_fp8_fp8
// GFX1250: v_wmma_f32_16x16x64_fp8_fp8 v[16:23], v[0:7], v[8:15], 1.0 neg_lo:[0,0,1] ; encoding: [0x10,0x00,0x6a,0xcc,0x00,0x11,0xca,0x9b]
// WAVESIZE-ERR: :[[@LINE-3]]:1: error: instruction requires wavesize=32

v_wmma_f32_16x16x64_fp8_fp8 v[16:23], v[0:7], v[8:15], v[16:23] neg_lo:[0,0,1]
// GFX12-ERR: :[[@LINE-1]]:1: error: instruction not supported on this GPU (gfx1200): v_wmma_f32_16x16x64_fp8_fp8
// GFX1250: v_wmma_f32_16x16x64_fp8_fp8 v[16:23], v[0:7], v[8:15], v[16:23] neg_lo:[0,0,1] ; encoding: [0x10,0x00,0x6a,0xcc,0x00,0x11,0x42,0x9c]
// WAVESIZE-ERR: :[[@LINE-3]]:1: error: instruction requires wavesize=32

v_wmma_f32_16x16x64_fp8_fp8 v[16:23], v[0:7], v[8:15], v[16:23] neg_hi:[0,0,1]
// GFX12-ERR: :[[@LINE-1]]:1: error: instruction not supported on this GPU (gfx1200): v_wmma_f32_16x16x64_fp8_fp8
// GFX1250: v_wmma_f32_16x16x64_fp8_fp8 v[16:23], v[0:7], v[8:15], v[16:23] neg_hi:[0,0,1] ; encoding: [0x10,0x04,0x6a,0xcc,0x00,0x11,0x42,0x1c]
// WAVESIZE-ERR: :[[@LINE-3]]:1: error: instruction requires wavesize=32

v_wmma_f32_16x16x64_fp8_fp8 v[16:23], v[0:7], v[8:15], v[16:23] matrix_a_reuse
// GFX12-ERR: :[[@LINE-1]]:1: error: instruction not supported on this GPU (gfx1200): v_wmma_f32_16x16x64_fp8_fp8
// GFX1250: v_wmma_f32_16x16x64_fp8_fp8 v[16:23], v[0:7], v[8:15], v[16:23] matrix_a_reuse ; encoding: [0x10,0x20,0x6a,0xcc,0x00,0x11,0x42,0x1c]
// WAVESIZE-ERR: :[[@LINE-3]]:1: error: instruction requires wavesize=32

v_wmma_f32_16x16x64_fp8_fp8 v[16:23], v[0:7], v[8:15], v[16:23] matrix_b_reuse
// GFX12-ERR: :[[@LINE-1]]:1: error: instruction not supported on this GPU (gfx1200): v_wmma_f32_16x16x64_fp8_fp8
// GFX1250: v_wmma_f32_16x16x64_fp8_fp8 v[16:23], v[0:7], v[8:15], v[16:23] matrix_b_reuse ; encoding: [0x10,0x40,0x6a,0xcc,0x00,0x11,0x42,0x1c]
// WAVESIZE-ERR: :[[@LINE-3]]:1: error: instruction requires wavesize=32

v_wmma_f32_16x16x64_fp8_bf8 v[16:23], v[0:7], v[8:15], v[16:23]
// GFX12-ERR: :[[@LINE-1]]:1: error: instruction not supported on this GPU (gfx1200): v_wmma_f32_16x16x64_fp8_bf8
// GFX1250: v_wmma_f32_16x16x64_fp8_bf8 v[16:23], v[0:7], v[8:15], v[16:23] ; encoding: [0x10,0x00,0x6b,0xcc,0x00,0x11,0x42,0x1c]
// WAVESIZE-ERR: :[[@LINE-3]]:1: error: instruction requires wavesize=32

v_wmma_f32_16x16x64_fp8_bf8 v[16:23], v[0:7], v[8:15], 1.0
// GFX12-ERR: :[[@LINE-1]]:1: error: instruction not supported on this GPU (gfx1200): v_wmma_f32_16x16x64_fp8_bf8
// GFX1250: v_wmma_f32_16x16x64_fp8_bf8 v[16:23], v[0:7], v[8:15], 1.0 ; encoding: [0x10,0x00,0x6b,0xcc,0x00,0x11,0xca,0x1b]
// WAVESIZE-ERR: :[[@LINE-3]]:1: error: instruction requires wavesize=32

v_wmma_f32_16x16x64_fp8_bf8 v[16:23], v[0:7], v[8:15], 1.0 neg_lo:[0,0,1]
// GFX12-ERR: :[[@LINE-1]]:1: error: instruction not supported on this GPU (gfx1200): v_wmma_f32_16x16x64_fp8_bf8
// GFX1250: v_wmma_f32_16x16x64_fp8_bf8 v[16:23], v[0:7], v[8:15], 1.0 neg_lo:[0,0,1] ; encoding: [0x10,0x00,0x6b,0xcc,0x00,0x11,0xca,0x9b]
// WAVESIZE-ERR: :[[@LINE-3]]:1: error: instruction requires wavesize=32

v_wmma_f32_16x16x64_fp8_bf8 v[16:23], v[0:7], v[8:15], v[16:23] neg_lo:[0,0,1]
// GFX12-ERR: :[[@LINE-1]]:1: error: instruction not supported on this GPU (gfx1200): v_wmma_f32_16x16x64_fp8_bf8
// GFX1250: v_wmma_f32_16x16x64_fp8_bf8 v[16:23], v[0:7], v[8:15], v[16:23] neg_lo:[0,0,1] ; encoding: [0x10,0x00,0x6b,0xcc,0x00,0x11,0x42,0x9c]
// WAVESIZE-ERR: :[[@LINE-3]]:1: error: instruction requires wavesize=32

v_wmma_f32_16x16x64_fp8_bf8 v[16:23], v[0:7], v[8:15], v[16:23] neg_hi:[0,0,1]
// GFX12-ERR: :[[@LINE-1]]:1: error: instruction not supported on this GPU (gfx1200): v_wmma_f32_16x16x64_fp8_bf8
// GFX1250: v_wmma_f32_16x16x64_fp8_bf8 v[16:23], v[0:7], v[8:15], v[16:23] neg_hi:[0,0,1] ; encoding: [0x10,0x04,0x6b,0xcc,0x00,0x11,0x42,0x1c]
// WAVESIZE-ERR: :[[@LINE-3]]:1: error: instruction requires wavesize=32

v_wmma_f32_16x16x64_fp8_bf8 v[16:23], v[0:7], v[8:15], v[16:23] matrix_a_reuse
// GFX12-ERR: :[[@LINE-1]]:1: error: instruction not supported on this GPU (gfx1200): v_wmma_f32_16x16x64_fp8_bf8
// GFX1250: v_wmma_f32_16x16x64_fp8_bf8 v[16:23], v[0:7], v[8:15], v[16:23] matrix_a_reuse ; encoding: [0x10,0x20,0x6b,0xcc,0x00,0x11,0x42,0x1c]
// WAVESIZE-ERR: :[[@LINE-3]]:1: error: instruction requires wavesize=32

v_wmma_f32_16x16x64_fp8_bf8 v[16:23], v[0:7], v[8:15], v[16:23] matrix_b_reuse
// GFX12-ERR: :[[@LINE-1]]:1: error: instruction not supported on this GPU (gfx1200): v_wmma_f32_16x16x64_fp8_bf8
// GFX1250: v_wmma_f32_16x16x64_fp8_bf8 v[16:23], v[0:7], v[8:15], v[16:23] matrix_b_reuse ; encoding: [0x10,0x40,0x6b,0xcc,0x00,0x11,0x42,0x1c]
// WAVESIZE-ERR: :[[@LINE-3]]:1: error: instruction requires wavesize=32

v_wmma_f32_16x16x64_bf8_fp8 v[16:23], v[0:7], v[8:15], v[16:23]
// GFX12-ERR: :[[@LINE-1]]:1: error: instruction not supported on this GPU (gfx1200): v_wmma_f32_16x16x64_bf8_fp8
// GFX1250: v_wmma_f32_16x16x64_bf8_fp8 v[16:23], v[0:7], v[8:15], v[16:23] ; encoding: [0x10,0x00,0x6c,0xcc,0x00,0x11,0x42,0x1c]
// WAVESIZE-ERR: :[[@LINE-3]]:1: error: instruction requires wavesize=32

v_wmma_f32_16x16x64_bf8_fp8 v[16:23], v[0:7], v[8:15], 1.0
// GFX12-ERR: :[[@LINE-1]]:1: error: instruction not supported on this GPU (gfx1200): v_wmma_f32_16x16x64_bf8_fp8
// GFX1250: v_wmma_f32_16x16x64_bf8_fp8 v[16:23], v[0:7], v[8:15], 1.0 ; encoding: [0x10,0x00,0x6c,0xcc,0x00,0x11,0xca,0x1b]
// WAVESIZE-ERR: :[[@LINE-3]]:1: error: instruction requires wavesize=32

v_wmma_f32_16x16x64_bf8_fp8 v[16:23], v[0:7], v[8:15], 1.0 neg_lo:[0,0,1]
// GFX12-ERR: :[[@LINE-1]]:1: error: instruction not supported on this GPU (gfx1200): v_wmma_f32_16x16x64_bf8_fp8
// GFX1250: v_wmma_f32_16x16x64_bf8_fp8 v[16:23], v[0:7], v[8:15], 1.0 neg_lo:[0,0,1] ; encoding: [0x10,0x00,0x6c,0xcc,0x00,0x11,0xca,0x9b]
// WAVESIZE-ERR: :[[@LINE-3]]:1: error: instruction requires wavesize=32

v_wmma_f32_16x16x64_bf8_fp8 v[16:23], v[0:7], v[8:15], v[16:23] neg_lo:[0,0,1]
// GFX12-ERR: :[[@LINE-1]]:1: error: instruction not supported on this GPU (gfx1200): v_wmma_f32_16x16x64_bf8_fp8
// GFX1250: v_wmma_f32_16x16x64_bf8_fp8 v[16:23], v[0:7], v[8:15], v[16:23] neg_lo:[0,0,1] ; encoding: [0x10,0x00,0x6c,0xcc,0x00,0x11,0x42,0x9c]
// WAVESIZE-ERR: :[[@LINE-3]]:1: error: instruction requires wavesize=32

v_wmma_f32_16x16x64_bf8_fp8 v[16:23], v[0:7], v[8:15], v[16:23] neg_hi:[0,0,1]
// GFX12-ERR: :[[@LINE-1]]:1: error: instruction not supported on this GPU (gfx1200): v_wmma_f32_16x16x64_bf8_fp8
// GFX1250: v_wmma_f32_16x16x64_bf8_fp8 v[16:23], v[0:7], v[8:15], v[16:23] neg_hi:[0,0,1] ; encoding: [0x10,0x04,0x6c,0xcc,0x00,0x11,0x42,0x1c]
// WAVESIZE-ERR: :[[@LINE-3]]:1: error: instruction requires wavesize=32

v_wmma_f32_16x16x64_bf8_fp8 v[16:23], v[0:7], v[8:15], v[16:23] matrix_a_reuse
// GFX12-ERR: :[[@LINE-1]]:1: error: instruction not supported on this GPU (gfx1200): v_wmma_f32_16x16x64_bf8_fp8
// GFX1250: v_wmma_f32_16x16x64_bf8_fp8 v[16:23], v[0:7], v[8:15], v[16:23] matrix_a_reuse ; encoding: [0x10,0x20,0x6c,0xcc,0x00,0x11,0x42,0x1c]
// WAVESIZE-ERR: :[[@LINE-3]]:1: error: instruction requires wavesize=32

v_wmma_f32_16x16x64_bf8_fp8 v[16:23], v[0:7], v[8:15], v[16:23] matrix_b_reuse
// GFX12-ERR: :[[@LINE-1]]:1: error: instruction not supported on this GPU (gfx1200): v_wmma_f32_16x16x64_bf8_fp8
// GFX1250: v_wmma_f32_16x16x64_bf8_fp8 v[16:23], v[0:7], v[8:15], v[16:23] matrix_b_reuse ; encoding: [0x10,0x40,0x6c,0xcc,0x00,0x11,0x42,0x1c]
// WAVESIZE-ERR: :[[@LINE-3]]:1: error: instruction requires wavesize=32

v_wmma_f32_16x16x64_bf8_bf8 v[16:23], v[0:7], v[8:15], v[16:23]
// GFX12-ERR: :[[@LINE-1]]:1: error: instruction not supported on this GPU (gfx1200): v_wmma_f32_16x16x64_bf8_bf8
// GFX1250: v_wmma_f32_16x16x64_bf8_bf8 v[16:23], v[0:7], v[8:15], v[16:23] ; encoding: [0x10,0x00,0x6d,0xcc,0x00,0x11,0x42,0x1c]
// WAVESIZE-ERR: :[[@LINE-3]]:1: error: instruction requires wavesize=32

v_wmma_f32_16x16x64_bf8_bf8 v[16:23], v[0:7], v[8:15], 1.0
// GFX12-ERR: :[[@LINE-1]]:1: error: instruction not supported on this GPU (gfx1200): v_wmma_f32_16x16x64_bf8_bf8
// GFX1250: v_wmma_f32_16x16x64_bf8_bf8 v[16:23], v[0:7], v[8:15], 1.0 ; encoding: [0x10,0x00,0x6d,0xcc,0x00,0x11,0xca,0x1b]
// WAVESIZE-ERR: :[[@LINE-3]]:1: error: instruction requires wavesize=32

v_wmma_f32_16x16x64_bf8_bf8 v[16:23], v[0:7], v[8:15], 1.0 neg_lo:[0,0,1]
// GFX12-ERR: :[[@LINE-1]]:1: error: instruction not supported on this GPU (gfx1200): v_wmma_f32_16x16x64_bf8_bf8
// GFX1250: v_wmma_f32_16x16x64_bf8_bf8 v[16:23], v[0:7], v[8:15], 1.0 neg_lo:[0,0,1] ; encoding: [0x10,0x00,0x6d,0xcc,0x00,0x11,0xca,0x9b]
// WAVESIZE-ERR: :[[@LINE-3]]:1: error: instruction requires wavesize=32

v_wmma_f32_16x16x64_bf8_bf8 v[16:23], v[0:7], v[8:15], v[16:23] neg_lo:[0,0,1]
// GFX12-ERR: :[[@LINE-1]]:1: error: instruction not supported on this GPU (gfx1200): v_wmma_f32_16x16x64_bf8_bf8
// GFX1250: v_wmma_f32_16x16x64_bf8_bf8 v[16:23], v[0:7], v[8:15], v[16:23] neg_lo:[0,0,1] ; encoding: [0x10,0x00,0x6d,0xcc,0x00,0x11,0x42,0x9c]
// WAVESIZE-ERR: :[[@LINE-3]]:1: error: instruction requires wavesize=32

v_wmma_f32_16x16x64_bf8_bf8 v[16:23], v[0:7], v[8:15], v[16:23] neg_hi:[0,0,1]
// GFX12-ERR: :[[@LINE-1]]:1: error: instruction not supported on this GPU (gfx1200): v_wmma_f32_16x16x64_bf8_bf8
// GFX1250: v_wmma_f32_16x16x64_bf8_bf8 v[16:23], v[0:7], v[8:15], v[16:23] neg_hi:[0,0,1] ; encoding: [0x10,0x04,0x6d,0xcc,0x00,0x11,0x42,0x1c]
// WAVESIZE-ERR: :[[@LINE-3]]:1: error: instruction requires wavesize=32

v_wmma_f32_16x16x64_bf8_bf8 v[16:23], v[0:7], v[8:15], v[16:23] matrix_a_reuse
// GFX12-ERR: :[[@LINE-1]]:1: error: instruction not supported on this GPU (gfx1200): v_wmma_f32_16x16x64_bf8_bf8
// GFX1250: v_wmma_f32_16x16x64_bf8_bf8 v[16:23], v[0:7], v[8:15], v[16:23] matrix_a_reuse ; encoding: [0x10,0x20,0x6d,0xcc,0x00,0x11,0x42,0x1c]
// WAVESIZE-ERR: :[[@LINE-3]]:1: error: instruction requires wavesize=32

v_wmma_f32_16x16x64_bf8_bf8 v[16:23], v[0:7], v[8:15], v[16:23] matrix_b_reuse
// GFX12-ERR: :[[@LINE-1]]:1: error: instruction not supported on this GPU (gfx1200): v_wmma_f32_16x16x64_bf8_bf8
// GFX1250: v_wmma_f32_16x16x64_bf8_bf8 v[16:23], v[0:7], v[8:15], v[16:23] matrix_b_reuse ; encoding: [0x10,0x40,0x6d,0xcc,0x00,0x11,0x42,0x1c]
// WAVESIZE-ERR: :[[@LINE-3]]:1: error: instruction requires wavesize=32

v_wmma_f16_16x16x64_fp8_fp8 v[16:19], v[0:7], v[8:15], v[16:19]
// GFX12-ERR: :[[@LINE-1]]:1: error: instruction not supported on this GPU (gfx1200): v_wmma_f16_16x16x64_fp8_fp8
// GFX1250: v_wmma_f16_16x16x64_fp8_fp8 v[16:19], v[0:7], v[8:15], v[16:19] ; encoding: [0x10,0x00,0x6e,0xcc,0x00,0x11,0x42,0x1c]
// WAVESIZE-ERR: :[[@LINE-3]]:1: error: instruction requires wavesize=32

v_wmma_f16_16x16x64_fp8_fp8 v[16:19], v[0:7], v[8:15], 1.0
// GFX12-ERR: :[[@LINE-1]]:1: error: instruction not supported on this GPU (gfx1200): v_wmma_f16_16x16x64_fp8_fp8
// GFX1250: v_wmma_f16_16x16x64_fp8_fp8 v[16:19], v[0:7], v[8:15], 1.0 ; encoding: [0x10,0x00,0x6e,0xcc,0x00,0x11,0xca,0x1b]
// WAVESIZE-ERR: :[[@LINE-3]]:1: error: instruction requires wavesize=32

v_wmma_f16_16x16x64_fp8_fp8 v[16:19], v[0:7], v[8:15], 1.0 neg_lo:[0,0,1]
// GFX12-ERR: :[[@LINE-1]]:1: error: instruction not supported on this GPU (gfx1200): v_wmma_f16_16x16x64_fp8_fp8
// GFX1250: v_wmma_f16_16x16x64_fp8_fp8 v[16:19], v[0:7], v[8:15], 1.0 neg_lo:[0,0,1] ; encoding: [0x10,0x00,0x6e,0xcc,0x00,0x11,0xca,0x9b]
// WAVESIZE-ERR: :[[@LINE-3]]:1: error: instruction requires wavesize=32

v_wmma_f16_16x16x64_fp8_fp8 v[16:19], v[0:7], v[8:15], v[16:19] neg_lo:[0,0,1]
// GFX12-ERR: :[[@LINE-1]]:1: error: instruction not supported on this GPU (gfx1200): v_wmma_f16_16x16x64_fp8_fp8
// GFX1250: v_wmma_f16_16x16x64_fp8_fp8 v[16:19], v[0:7], v[8:15], v[16:19] neg_lo:[0,0,1] ; encoding: [0x10,0x00,0x6e,0xcc,0x00,0x11,0x42,0x9c]
// WAVESIZE-ERR: :[[@LINE-3]]:1: error: instruction requires wavesize=32

v_wmma_f16_16x16x64_fp8_fp8 v[16:19], v[0:7], v[8:15], v[16:19] neg_hi:[0,0,1]
// GFX12-ERR: :[[@LINE-1]]:1: error: instruction not supported on this GPU (gfx1200): v_wmma_f16_16x16x64_fp8_fp8
// GFX1250: v_wmma_f16_16x16x64_fp8_fp8 v[16:19], v[0:7], v[8:15], v[16:19] neg_hi:[0,0,1] ; encoding: [0x10,0x04,0x6e,0xcc,0x00,0x11,0x42,0x1c]
// WAVESIZE-ERR: :[[@LINE-3]]:1: error: instruction requires wavesize=32

v_wmma_f16_16x16x64_fp8_fp8 v[16:19], v[0:7], v[8:15], v[16:19] matrix_a_reuse
// GFX12-ERR: :[[@LINE-1]]:1: error: instruction not supported on this GPU (gfx1200): v_wmma_f16_16x16x64_fp8_fp8
// GFX1250: v_wmma_f16_16x16x64_fp8_fp8 v[16:19], v[0:7], v[8:15], v[16:19] matrix_a_reuse ; encoding: [0x10,0x20,0x6e,0xcc,0x00,0x11,0x42,0x1c]
// WAVESIZE-ERR: :[[@LINE-3]]:1: error: instruction requires wavesize=32

v_wmma_f16_16x16x64_fp8_fp8 v[16:19], v[0:7], v[8:15], v[16:19] matrix_b_reuse
// GFX12-ERR: :[[@LINE-1]]:1: error: instruction not supported on this GPU (gfx1200): v_wmma_f16_16x16x64_fp8_fp8
// GFX1250: v_wmma_f16_16x16x64_fp8_fp8 v[16:19], v[0:7], v[8:15], v[16:19] matrix_b_reuse ; encoding: [0x10,0x40,0x6e,0xcc,0x00,0x11,0x42,0x1c]
// WAVESIZE-ERR: :[[@LINE-3]]:1: error: instruction requires wavesize=32

v_wmma_f16_16x16x64_fp8_bf8 v[16:19], v[0:7], v[8:15], v[16:19]
// GFX12-ERR: :[[@LINE-1]]:1: error: instruction not supported on this GPU (gfx1200): v_wmma_f16_16x16x64_fp8_bf8
// GFX1250: v_wmma_f16_16x16x64_fp8_bf8 v[16:19], v[0:7], v[8:15], v[16:19] ; encoding: [0x10,0x00,0x6f,0xcc,0x00,0x11,0x42,0x1c]
// WAVESIZE-ERR: :[[@LINE-3]]:1: error: instruction requires wavesize=32

v_wmma_f16_16x16x64_fp8_bf8 v[16:19], v[0:7], v[8:15], 1.0
// GFX12-ERR: :[[@LINE-1]]:1: error: instruction not supported on this GPU (gfx1200): v_wmma_f16_16x16x64_fp8_bf8
// GFX1250: v_wmma_f16_16x16x64_fp8_bf8 v[16:19], v[0:7], v[8:15], 1.0 ; encoding: [0x10,0x00,0x6f,0xcc,0x00,0x11,0xca,0x1b]
// WAVESIZE-ERR: :[[@LINE-3]]:1: error: instruction requires wavesize=32

v_wmma_f16_16x16x64_fp8_bf8 v[16:19], v[0:7], v[8:15], 1.0 neg_lo:[0,0,1]
// GFX12-ERR: :[[@LINE-1]]:1: error: instruction not supported on this GPU (gfx1200): v_wmma_f16_16x16x64_fp8_bf8
// GFX1250: v_wmma_f16_16x16x64_fp8_bf8 v[16:19], v[0:7], v[8:15], 1.0 neg_lo:[0,0,1] ; encoding: [0x10,0x00,0x6f,0xcc,0x00,0x11,0xca,0x9b]
// WAVESIZE-ERR: :[[@LINE-3]]:1: error: instruction requires wavesize=32

v_wmma_f16_16x16x64_fp8_bf8 v[16:19], v[0:7], v[8:15], v[16:19] neg_lo:[0,0,1]
// GFX12-ERR: :[[@LINE-1]]:1: error: instruction not supported on this GPU (gfx1200): v_wmma_f16_16x16x64_fp8_bf8
// GFX1250: v_wmma_f16_16x16x64_fp8_bf8 v[16:19], v[0:7], v[8:15], v[16:19] neg_lo:[0,0,1] ; encoding: [0x10,0x00,0x6f,0xcc,0x00,0x11,0x42,0x9c]
// WAVESIZE-ERR: :[[@LINE-3]]:1: error: instruction requires wavesize=32

v_wmma_f16_16x16x64_fp8_bf8 v[16:19], v[0:7], v[8:15], v[16:19] neg_hi:[0,0,1]
// GFX12-ERR: :[[@LINE-1]]:1: error: instruction not supported on this GPU (gfx1200): v_wmma_f16_16x16x64_fp8_bf8
// GFX1250: v_wmma_f16_16x16x64_fp8_bf8 v[16:19], v[0:7], v[8:15], v[16:19] neg_hi:[0,0,1] ; encoding: [0x10,0x04,0x6f,0xcc,0x00,0x11,0x42,0x1c]
// WAVESIZE-ERR: :[[@LINE-3]]:1: error: instruction requires wavesize=32

v_wmma_f16_16x16x64_fp8_bf8 v[16:19], v[0:7], v[8:15], v[16:19] matrix_a_reuse
// GFX12-ERR: :[[@LINE-1]]:1: error: instruction not supported on this GPU (gfx1200): v_wmma_f16_16x16x64_fp8_bf8
// GFX1250: v_wmma_f16_16x16x64_fp8_bf8 v[16:19], v[0:7], v[8:15], v[16:19] matrix_a_reuse ; encoding: [0x10,0x20,0x6f,0xcc,0x00,0x11,0x42,0x1c]
// WAVESIZE-ERR: :[[@LINE-3]]:1: error: instruction requires wavesize=32

v_wmma_f16_16x16x64_fp8_bf8 v[16:19], v[0:7], v[8:15], v[16:19] matrix_b_reuse
// GFX12-ERR: :[[@LINE-1]]:1: error: instruction not supported on this GPU (gfx1200): v_wmma_f16_16x16x64_fp8_bf8
// GFX1250: v_wmma_f16_16x16x64_fp8_bf8 v[16:19], v[0:7], v[8:15], v[16:19] matrix_b_reuse ; encoding: [0x10,0x40,0x6f,0xcc,0x00,0x11,0x42,0x1c]
// WAVESIZE-ERR: :[[@LINE-3]]:1: error: instruction requires wavesize=32

v_wmma_f16_16x16x64_bf8_fp8 v[16:19], v[0:7], v[8:15], v[16:19]
// GFX12-ERR: :[[@LINE-1]]:1: error: instruction not supported on this GPU (gfx1200): v_wmma_f16_16x16x64_bf8_fp8
// GFX1250: v_wmma_f16_16x16x64_bf8_fp8 v[16:19], v[0:7], v[8:15], v[16:19] ; encoding: [0x10,0x00,0x70,0xcc,0x00,0x11,0x42,0x1c]
// WAVESIZE-ERR: :[[@LINE-3]]:1: error: instruction requires wavesize=32

v_wmma_f16_16x16x64_bf8_fp8 v[16:19], v[0:7], v[8:15], 1.0
// GFX12-ERR: :[[@LINE-1]]:1: error: instruction not supported on this GPU (gfx1200): v_wmma_f16_16x16x64_bf8_fp8
// GFX1250: v_wmma_f16_16x16x64_bf8_fp8 v[16:19], v[0:7], v[8:15], 1.0 ; encoding: [0x10,0x00,0x70,0xcc,0x00,0x11,0xca,0x1b]
// WAVESIZE-ERR: :[[@LINE-3]]:1: error: instruction requires wavesize=32

v_wmma_f16_16x16x64_bf8_fp8 v[16:19], v[0:7], v[8:15], 1.0 neg_lo:[0,0,1]
// GFX12-ERR: :[[@LINE-1]]:1: error: instruction not supported on this GPU (gfx1200): v_wmma_f16_16x16x64_bf8_fp8
// GFX1250: v_wmma_f16_16x16x64_bf8_fp8 v[16:19], v[0:7], v[8:15], 1.0 neg_lo:[0,0,1] ; encoding: [0x10,0x00,0x70,0xcc,0x00,0x11,0xca,0x9b]
// WAVESIZE-ERR: :[[@LINE-3]]:1: error: instruction requires wavesize=32

v_wmma_f16_16x16x64_bf8_fp8 v[16:19], v[0:7], v[8:15], v[16:19] neg_lo:[0,0,1]
// GFX12-ERR: :[[@LINE-1]]:1: error: instruction not supported on this GPU (gfx1200): v_wmma_f16_16x16x64_bf8_fp8
// GFX1250: v_wmma_f16_16x16x64_bf8_fp8 v[16:19], v[0:7], v[8:15], v[16:19] neg_lo:[0,0,1] ; encoding: [0x10,0x00,0x70,0xcc,0x00,0x11,0x42,0x9c]
// WAVESIZE-ERR: :[[@LINE-3]]:1: error: instruction requires wavesize=32

v_wmma_f16_16x16x64_bf8_fp8 v[16:19], v[0:7], v[8:15], v[16:19] neg_hi:[0,0,1]
// GFX12-ERR: :[[@LINE-1]]:1: error: instruction not supported on this GPU (gfx1200): v_wmma_f16_16x16x64_bf8_fp8
// GFX1250: v_wmma_f16_16x16x64_bf8_fp8 v[16:19], v[0:7], v[8:15], v[16:19] neg_hi:[0,0,1] ; encoding: [0x10,0x04,0x70,0xcc,0x00,0x11,0x42,0x1c]
// WAVESIZE-ERR: :[[@LINE-3]]:1: error: instruction requires wavesize=32

v_wmma_f16_16x16x64_bf8_fp8 v[16:19], v[0:7], v[8:15], v[16:19] matrix_a_reuse
// GFX12-ERR: :[[@LINE-1]]:1: error: instruction not supported on this GPU (gfx1200): v_wmma_f16_16x16x64_bf8_fp8
// GFX1250: v_wmma_f16_16x16x64_bf8_fp8 v[16:19], v[0:7], v[8:15], v[16:19] matrix_a_reuse ; encoding: [0x10,0x20,0x70,0xcc,0x00,0x11,0x42,0x1c]
// WAVESIZE-ERR: :[[@LINE-3]]:1: error: instruction requires wavesize=32

v_wmma_f16_16x16x64_bf8_fp8 v[16:19], v[0:7], v[8:15], v[16:19] matrix_b_reuse
// GFX12-ERR: :[[@LINE-1]]:1: error: instruction not supported on this GPU (gfx1200): v_wmma_f16_16x16x64_bf8_fp8
// GFX1250: v_wmma_f16_16x16x64_bf8_fp8 v[16:19], v[0:7], v[8:15], v[16:19] matrix_b_reuse ; encoding: [0x10,0x40,0x70,0xcc,0x00,0x11,0x42,0x1c]
// WAVESIZE-ERR: :[[@LINE-3]]:1: error: instruction requires wavesize=32

v_wmma_f16_16x16x64_bf8_bf8 v[16:19], v[0:7], v[8:15], v[16:19]
// GFX12-ERR: :[[@LINE-1]]:1: error: instruction not supported on this GPU (gfx1200): v_wmma_f16_16x16x64_bf8_bf8
// GFX1250: v_wmma_f16_16x16x64_bf8_bf8 v[16:19], v[0:7], v[8:15], v[16:19] ; encoding: [0x10,0x00,0x71,0xcc,0x00,0x11,0x42,0x1c]
// WAVESIZE-ERR: :[[@LINE-3]]:1: error: instruction requires wavesize=32

v_wmma_f16_16x16x64_bf8_bf8 v[16:19], v[0:7], v[8:15], 1.0
// GFX12-ERR: :[[@LINE-1]]:1: error: instruction not supported on this GPU (gfx1200): v_wmma_f16_16x16x64_bf8_bf8
// GFX1250: v_wmma_f16_16x16x64_bf8_bf8 v[16:19], v[0:7], v[8:15], 1.0 ; encoding: [0x10,0x00,0x71,0xcc,0x00,0x11,0xca,0x1b]
// WAVESIZE-ERR: :[[@LINE-3]]:1: error: instruction requires wavesize=32

v_wmma_f16_16x16x64_bf8_bf8 v[16:19], v[0:7], v[8:15], 1.0 neg_lo:[0,0,1]
// GFX12-ERR: :[[@LINE-1]]:1: error: instruction not supported on this GPU (gfx1200): v_wmma_f16_16x16x64_bf8_bf8
// GFX1250: v_wmma_f16_16x16x64_bf8_bf8 v[16:19], v[0:7], v[8:15], 1.0 neg_lo:[0,0,1] ; encoding: [0x10,0x00,0x71,0xcc,0x00,0x11,0xca,0x9b]
// WAVESIZE-ERR: :[[@LINE-3]]:1: error: instruction requires wavesize=32

v_wmma_f16_16x16x64_bf8_bf8 v[16:19], v[0:7], v[8:15], v[16:19] neg_lo:[0,0,1]
// GFX12-ERR: :[[@LINE-1]]:1: error: instruction not supported on this GPU (gfx1200): v_wmma_f16_16x16x64_bf8_bf8
// GFX1250: v_wmma_f16_16x16x64_bf8_bf8 v[16:19], v[0:7], v[8:15], v[16:19] neg_lo:[0,0,1] ; encoding: [0x10,0x00,0x71,0xcc,0x00,0x11,0x42,0x9c]
// WAVESIZE-ERR: :[[@LINE-3]]:1: error: instruction requires wavesize=32

v_wmma_f16_16x16x64_bf8_bf8 v[16:19], v[0:7], v[8:15], v[16:19] neg_hi:[0,0,1]
// GFX12-ERR: :[[@LINE-1]]:1: error: instruction not supported on this GPU (gfx1200): v_wmma_f16_16x16x64_bf8_bf8
// GFX1250: v_wmma_f16_16x16x64_bf8_bf8 v[16:19], v[0:7], v[8:15], v[16:19] neg_hi:[0,0,1] ; encoding: [0x10,0x04,0x71,0xcc,0x00,0x11,0x42,0x1c]
// WAVESIZE-ERR: :[[@LINE-3]]:1: error: instruction requires wavesize=32

v_wmma_f16_16x16x64_bf8_bf8 v[16:19], v[0:7], v[8:15], v[16:19] matrix_a_reuse
// GFX12-ERR: :[[@LINE-1]]:1: error: instruction not supported on this GPU (gfx1200): v_wmma_f16_16x16x64_bf8_bf8
// GFX1250: v_wmma_f16_16x16x64_bf8_bf8 v[16:19], v[0:7], v[8:15], v[16:19] matrix_a_reuse ; encoding: [0x10,0x20,0x71,0xcc,0x00,0x11,0x42,0x1c]
// WAVESIZE-ERR: :[[@LINE-3]]:1: error: instruction requires wavesize=32

v_wmma_f16_16x16x64_bf8_bf8 v[16:19], v[0:7], v[8:15], v[16:19] matrix_b_reuse
// GFX12-ERR: :[[@LINE-1]]:1: error: instruction not supported on this GPU (gfx1200): v_wmma_f16_16x16x64_bf8_bf8
// GFX1250: v_wmma_f16_16x16x64_bf8_bf8 v[16:19], v[0:7], v[8:15], v[16:19] matrix_b_reuse ; encoding: [0x10,0x40,0x71,0xcc,0x00,0x11,0x42,0x1c]
// WAVESIZE-ERR: :[[@LINE-3]]:1: error: instruction requires wavesize=32

v_wmma_i32_16x16x64_iu8 v[16:23], v[0:7], v[8:15], v[16:23]
// GFX12-ERR: :[[@LINE-1]]:1: error: instruction not supported on this GPU (gfx1200): v_wmma_i32_16x16x64_iu8
// GFX1250: v_wmma_i32_16x16x64_iu8 v[16:23], v[0:7], v[8:15], v[16:23] ; encoding: [0x10,0x00,0x72,0xcc,0x00,0x11,0x42,0x1c]
// WAVESIZE-ERR: :[[@LINE-3]]:1: error: instruction requires wavesize=32

v_wmma_i32_16x16x64_iu8 v[16:23], v[0:7], v[8:15], 1
// GFX12-ERR: :[[@LINE-1]]:1: error: instruction not supported on this GPU (gfx1200): v_wmma_i32_16x16x64_iu8
// GFX1250: v_wmma_i32_16x16x64_iu8 v[16:23], v[0:7], v[8:15], 1 ; encoding: [0x10,0x00,0x72,0xcc,0x00,0x11,0x06,0x1a]
// WAVESIZE-ERR: :[[@LINE-3]]:1: error: instruction requires wavesize=32

v_wmma_i32_16x16x64_iu8 v[16:23], v[0:7], v[8:15], v[16:23] neg_lo:[1,0,0]
// GFX12-ERR: :[[@LINE-1]]:1: error: instruction not supported on this GPU (gfx1200): v_wmma_i32_16x16x64_iu8
// GFX1250: v_wmma_i32_16x16x64_iu8 v[16:23], v[0:7], v[8:15], v[16:23] neg_lo:[1,0,0] ; encoding: [0x10,0x00,0x72,0xcc,0x00,0x11,0x42,0x3c]
// WAVESIZE-ERR: :[[@LINE-3]]:1: error: instruction requires wavesize=32

v_wmma_i32_16x16x64_iu8 v[16:23], v[0:7], v[8:15], v[16:23] neg_lo:[0,1,0]
// GFX12-ERR: :[[@LINE-1]]:1: error: instruction not supported on this GPU (gfx1200): v_wmma_i32_16x16x64_iu8
// GFX1250: v_wmma_i32_16x16x64_iu8 v[16:23], v[0:7], v[8:15], v[16:23] neg_lo:[0,1,0] ; encoding: [0x10,0x00,0x72,0xcc,0x00,0x11,0x42,0x5c]
// WAVESIZE-ERR: :[[@LINE-3]]:1: error: instruction requires wavesize=32

v_wmma_i32_16x16x64_iu8 v[16:23], v[0:7], v[8:15], v[16:23] matrix_a_reuse
// GFX12-ERR: :[[@LINE-1]]:1: error: instruction not supported on this GPU (gfx1200): v_wmma_i32_16x16x64_iu8
// GFX1250: v_wmma_i32_16x16x64_iu8 v[16:23], v[0:7], v[8:15], v[16:23] matrix_a_reuse ; encoding: [0x10,0x20,0x72,0xcc,0x00,0x11,0x42,0x1c]
// WAVESIZE-ERR: :[[@LINE-3]]:1: error: instruction requires wavesize=32

v_wmma_i32_16x16x64_iu8 v[16:23], v[0:7], v[8:15], v[16:23] matrix_b_reuse
// GFX12-ERR: :[[@LINE-1]]:1: error: instruction not supported on this GPU (gfx1200): v_wmma_i32_16x16x64_iu8
// GFX1250: v_wmma_i32_16x16x64_iu8 v[16:23], v[0:7], v[8:15], v[16:23] matrix_b_reuse ; encoding: [0x10,0x40,0x72,0xcc,0x00,0x11,0x42,0x1c]
// WAVESIZE-ERR: :[[@LINE-3]]:1: error: instruction requires wavesize=32

v_wmma_i32_16x16x64_iu8 v[16:23], v[0:7], v[8:15], v[16:23] clamp
// GFX12-ERR: :[[@LINE-1]]:1: error: instruction not supported on this GPU (gfx1200): v_wmma_i32_16x16x64_iu8
// GFX1250: v_wmma_i32_16x16x64_iu8 v[16:23], v[0:7], v[8:15], v[16:23] clamp ; encoding: [0x10,0x80,0x72,0xcc,0x00,0x11,0x42,0x1c]
// WAVESIZE-ERR: :[[@LINE-3]]:1: error: instruction requires wavesize=32

v_wmma_f32_16x16x32_f16 v[16:23], v[0:7], v[8:15], v[16:23]
// GFX12-ERR: :[[@LINE-1]]:1: error: instruction not supported on this GPU (gfx1200): v_wmma_f32_16x16x32_f16
// GFX1250: v_wmma_f32_16x16x32_f16 v[16:23], v[0:7], v[8:15], v[16:23] ; encoding: [0x10,0x00,0x60,0xcc,0x00,0x11,0x42,0x1c]
// WAVESIZE-ERR: :[[@LINE-3]]:1: error: instruction requires wavesize=32

v_wmma_f32_16x16x32_f16 v[16:23], v[0:7], v[8:15], 1.0
// GFX12-ERR: :[[@LINE-1]]:1: error: instruction not supported on this GPU (gfx1200): v_wmma_f32_16x16x32_f16
// GFX1250: v_wmma_f32_16x16x32_f16 v[16:23], v[0:7], v[8:15], 1.0 ; encoding: [0x10,0x00,0x60,0xcc,0x00,0x11,0xca,0x1b]
// WAVESIZE-ERR: :[[@LINE-3]]:1: error: instruction requires wavesize=32

v_wmma_f32_16x16x32_f16 v[16:23], v[0:7], v[8:15], 1.0 neg_lo:[0,0,1]
// GFX12-ERR: :[[@LINE-1]]:1: error: instruction not supported on this GPU (gfx1200): v_wmma_f32_16x16x32_f16
// GFX1250: v_wmma_f32_16x16x32_f16 v[16:23], v[0:7], v[8:15], 1.0 neg_lo:[0,0,1] ; encoding: [0x10,0x00,0x60,0xcc,0x00,0x11,0xca,0x9b]
// WAVESIZE-ERR: :[[@LINE-3]]:1: error: instruction requires wavesize=32

v_wmma_f32_16x16x32_f16 v[16:23], v[0:7], v[8:15], v[16:23] neg_lo:[0,0,1] neg_hi:[0,0,1]
// GFX12-ERR: :[[@LINE-1]]:1: error: instruction not supported on this GPU (gfx1200): v_wmma_f32_16x16x32_f16
// GFX1250: v_wmma_f32_16x16x32_f16 v[16:23], v[0:7], v[8:15], v[16:23] neg_lo:[0,0,1] neg_hi:[0,0,1] ; encoding: [0x10,0x04,0x60,0xcc,0x00,0x11,0x42,0x9c]
// WAVESIZE-ERR: :[[@LINE-3]]:1: error: instruction requires wavesize=32

v_wmma_f32_16x16x32_f16 v[16:23], v[0:7], v[8:15], v[16:23] neg_lo:[0,0,1]
// GFX12-ERR: :[[@LINE-1]]:1: error: instruction not supported on this GPU (gfx1200): v_wmma_f32_16x16x32_f16
// GFX1250: v_wmma_f32_16x16x32_f16 v[16:23], v[0:7], v[8:15], v[16:23] neg_lo:[0,0,1] ; encoding: [0x10,0x00,0x60,0xcc,0x00,0x11,0x42,0x9c]
// WAVESIZE-ERR: :[[@LINE-3]]:1: error: instruction requires wavesize=32

v_wmma_f32_16x16x32_f16 v[16:23], v[0:7], v[8:15], v[16:23] neg_hi:[0,0,1]
// GFX12-ERR: :[[@LINE-1]]:1: error: instruction not supported on this GPU (gfx1200): v_wmma_f32_16x16x32_f16
// GFX1250: v_wmma_f32_16x16x32_f16 v[16:23], v[0:7], v[8:15], v[16:23] neg_hi:[0,0,1] ; encoding: [0x10,0x04,0x60,0xcc,0x00,0x11,0x42,0x1c]
// WAVESIZE-ERR: :[[@LINE-3]]:1: error: instruction requires wavesize=32

v_wmma_f32_16x16x32_f16 v[16:23], v[0:7], v[8:15], v[16:23] matrix_a_reuse
// GFX12-ERR: :[[@LINE-1]]:1: error: instruction not supported on this GPU (gfx1200): v_wmma_f32_16x16x32_f16
// GFX1250: v_wmma_f32_16x16x32_f16 v[16:23], v[0:7], v[8:15], v[16:23] matrix_a_reuse ; encoding: [0x10,0x20,0x60,0xcc,0x00,0x11,0x42,0x1c]
// WAVESIZE-ERR: :[[@LINE-3]]:1: error: instruction requires wavesize=32

v_wmma_f32_16x16x32_f16 v[16:23], v[0:7], v[8:15], v[16:23] matrix_b_reuse
// GFX12-ERR: :[[@LINE-1]]:1: error: instruction not supported on this GPU (gfx1200): v_wmma_f32_16x16x32_f16
// GFX1250: v_wmma_f32_16x16x32_f16 v[16:23], v[0:7], v[8:15], v[16:23] matrix_b_reuse ; encoding: [0x10,0x40,0x60,0xcc,0x00,0x11,0x42,0x1c]
// WAVESIZE-ERR: :[[@LINE-3]]:1: error: instruction requires wavesize=32

v_wmma_f16_16x16x32_f16 v[16:19], v[0:7], v[8:15], v[16:19]
// GFX12-ERR: :[[@LINE-1]]:1: error: instruction not supported on this GPU (gfx1200): v_wmma_f16_16x16x32_f16
// GFX1250: v_wmma_f16_16x16x32_f16 v[16:19], v[0:7], v[8:15], v[16:19] ; encoding: [0x10,0x00,0x61,0xcc,0x00,0x11,0x42,0x1c]
// WAVESIZE-ERR: :[[@LINE-3]]:1: error: instruction requires wavesize=32

v_wmma_f16_16x16x32_f16 v[16:19], v[0:7], v[8:15], 1.0
// GFX12-ERR: :[[@LINE-1]]:1: error: instruction not supported on this GPU (gfx1200): v_wmma_f16_16x16x32_f16
// GFX1250: v_wmma_f16_16x16x32_f16 v[16:19], v[0:7], v[8:15], 1.0 ; encoding: [0x10,0x00,0x61,0xcc,0x00,0x11,0xca,0x1b]
// WAVESIZE-ERR: :[[@LINE-3]]:1: error: instruction requires wavesize=32

v_wmma_f16_16x16x32_f16 v[16:19], v[0:7], v[8:15], 1.0 neg_lo:[0,0,1]
// GFX12-ERR: :[[@LINE-1]]:1: error: instruction not supported on this GPU (gfx1200): v_wmma_f16_16x16x32_f16
// GFX1250: v_wmma_f16_16x16x32_f16 v[16:19], v[0:7], v[8:15], 1.0 neg_lo:[0,0,1] ; encoding: [0x10,0x00,0x61,0xcc,0x00,0x11,0xca,0x9b]
// WAVESIZE-ERR: :[[@LINE-3]]:1: error: instruction requires wavesize=32

v_wmma_f16_16x16x32_f16 v[16:19], v[0:7], v[8:15], v[16:19] neg_lo:[0,0,1] neg_hi:[0,0,1]
// GFX12-ERR: :[[@LINE-1]]:1: error: instruction not supported on this GPU (gfx1200): v_wmma_f16_16x16x32_f16
// GFX1250: v_wmma_f16_16x16x32_f16 v[16:19], v[0:7], v[8:15], v[16:19] neg_lo:[0,0,1] neg_hi:[0,0,1] ; encoding: [0x10,0x04,0x61,0xcc,0x00,0x11,0x42,0x9c]
// WAVESIZE-ERR: :[[@LINE-3]]:1: error: instruction requires wavesize=32

v_wmma_f16_16x16x32_f16 v[16:19], v[0:7], v[8:15], v[16:19] neg_lo:[0,0,1]
// GFX12-ERR: :[[@LINE-1]]:1: error: instruction not supported on this GPU (gfx1200): v_wmma_f16_16x16x32_f16
// GFX1250: v_wmma_f16_16x16x32_f16 v[16:19], v[0:7], v[8:15], v[16:19] neg_lo:[0,0,1] ; encoding: [0x10,0x00,0x61,0xcc,0x00,0x11,0x42,0x9c]
// WAVESIZE-ERR: :[[@LINE-3]]:1: error: instruction requires wavesize=32

v_wmma_f16_16x16x32_f16 v[16:19], v[0:7], v[8:15], v[16:19] neg_hi:[0,0,1]
// GFX12-ERR: :[[@LINE-1]]:1: error: instruction not supported on this GPU (gfx1200): v_wmma_f16_16x16x32_f16
// GFX1250: v_wmma_f16_16x16x32_f16 v[16:19], v[0:7], v[8:15], v[16:19] neg_hi:[0,0,1] ; encoding: [0x10,0x04,0x61,0xcc,0x00,0x11,0x42,0x1c]
// WAVESIZE-ERR: :[[@LINE-3]]:1: error: instruction requires wavesize=32

v_wmma_f16_16x16x32_f16 v[16:19], v[0:7], v[8:15], v[16:19] matrix_a_reuse
// GFX12-ERR: :[[@LINE-1]]:1: error: instruction not supported on this GPU (gfx1200): v_wmma_f16_16x16x32_f16
// GFX1250: v_wmma_f16_16x16x32_f16 v[16:19], v[0:7], v[8:15], v[16:19] matrix_a_reuse ; encoding: [0x10,0x20,0x61,0xcc,0x00,0x11,0x42,0x1c]
// WAVESIZE-ERR: :[[@LINE-3]]:1: error: instruction requires wavesize=32

v_wmma_f16_16x16x32_f16 v[16:19], v[0:7], v[8:15], v[16:19] matrix_b_reuse
// GFX12-ERR: :[[@LINE-1]]:1: error: instruction not supported on this GPU (gfx1200): v_wmma_f16_16x16x32_f16
// GFX1250: v_wmma_f16_16x16x32_f16 v[16:19], v[0:7], v[8:15], v[16:19] matrix_b_reuse ; encoding: [0x10,0x40,0x61,0xcc,0x00,0x11,0x42,0x1c]
// WAVESIZE-ERR: :[[@LINE-3]]:1: error: instruction requires wavesize=32

v_swmmac_f32_16x16x64_bf16 v[24:31], v[0:7], v[8:23], v32
// GFX12-ERR: :[[@LINE-1]]:1: error: instruction not supported on this GPU (gfx1200): v_swmmac_f32_16x16x64_bf16
// GFX1250: v_swmmac_f32_16x16x64_bf16 v[24:31], v[0:7], v[8:23], v32 ; encoding: [0x18,0x00,0x66,0xcc,0x00,0x11,0x82,0x1c]
// WAVESIZE-ERR: :[[@LINE-3]]:1: error: instruction requires wavesize=32

v_swmmac_f32_16x16x64_bf16 v[24:31], v[0:7], v[8:23], v32 index_key:1
// GFX12-ERR: :[[@LINE-1]]:1: error: instruction not supported on this GPU (gfx1200): v_swmmac_f32_16x16x64_bf16
// GFX1250: v_swmmac_f32_16x16x64_bf16 v[24:31], v[0:7], v[8:23], v32 index_key:1 ; encoding: [0x18,0x08,0x66,0xcc,0x00,0x11,0x82,0x1c]
// WAVESIZE-ERR: :[[@LINE-3]]:1: error: instruction requires wavesize=32

v_swmmac_f32_16x16x64_bf16 v[24:31], v[0:7], v[8:23], v32 neg_lo:[1,0,0] neg_hi:[1,0,0]
// GFX12-ERR: :[[@LINE-1]]:1: error: instruction not supported on this GPU (gfx1200): v_swmmac_f32_16x16x64_bf16
// GFX1250: v_swmmac_f32_16x16x64_bf16 v[24:31], v[0:7], v[8:23], v32 neg_lo:[1,0,0] neg_hi:[1,0,0] ; encoding: [0x18,0x01,0x66,0xcc,0x00,0x11,0x82,0x3c]
// WAVESIZE-ERR: :[[@LINE-3]]:1: error: instruction requires wavesize=32

v_swmmac_f32_16x16x64_bf16 v[24:31], v[0:7], v[8:23], v32 neg_lo:[0,1,0] neg_hi:[0,1,0]
// GFX12-ERR: :[[@LINE-1]]:1: error: instruction not supported on this GPU (gfx1200): v_swmmac_f32_16x16x64_bf16
// GFX1250: v_swmmac_f32_16x16x64_bf16 v[24:31], v[0:7], v[8:23], v32 neg_lo:[0,1,0] neg_hi:[0,1,0] ; encoding: [0x18,0x02,0x66,0xcc,0x00,0x11,0x82,0x5c]
// WAVESIZE-ERR: :[[@LINE-3]]:1: error: instruction requires wavesize=32

v_swmmac_f32_16x16x64_bf16 v[24:31], v[0:7], v[8:23], v32 matrix_a_reuse
// GFX12-ERR: :[[@LINE-1]]:1: error: instruction not supported on this GPU (gfx1200): v_swmmac_f32_16x16x64_bf16
// GFX1250: v_swmmac_f32_16x16x64_bf16 v[24:31], v[0:7], v[8:23], v32 matrix_a_reuse ; encoding: [0x18,0x20,0x66,0xcc,0x00,0x11,0x82,0x1c]
// WAVESIZE-ERR: :[[@LINE-3]]:1: error: instruction requires wavesize=32

v_swmmac_f32_16x16x64_bf16 v[24:31], v[0:7], v[8:23], v32 matrix_b_reuse
// GFX12-ERR: :[[@LINE-1]]:1: error: instruction not supported on this GPU (gfx1200): v_swmmac_f32_16x16x64_bf16
// GFX1250: v_swmmac_f32_16x16x64_bf16 v[24:31], v[0:7], v[8:23], v32 matrix_b_reuse ; encoding: [0x18,0x40,0x66,0xcc,0x00,0x11,0x82,0x1c]
// WAVESIZE-ERR: :[[@LINE-3]]:1: error: instruction requires wavesize=32

v_swmmac_bf16_16x16x64_bf16 v[24:27], v[0:7], v[8:23], v28
// GFX12-ERR: :[[@LINE-1]]:1: error: instruction not supported on this GPU (gfx1200): v_swmmac_bf16_16x16x64_bf16
// GFX1250: v_swmmac_bf16_16x16x64_bf16 v[24:27], v[0:7], v[8:23], v28 ; encoding: [0x18,0x00,0x68,0xcc,0x00,0x11,0x72,0x1c]
// WAVESIZE-ERR: :[[@LINE-3]]:1: error: instruction requires wavesize=32

v_swmmac_bf16_16x16x64_bf16 v[24:27], v[0:7], v[8:23], v28 index_key:1
// GFX12-ERR: :[[@LINE-1]]:1: error: instruction not supported on this GPU (gfx1200): v_swmmac_bf16_16x16x64_bf16
// GFX1250: v_swmmac_bf16_16x16x64_bf16 v[24:27], v[0:7], v[8:23], v28 index_key:1 ; encoding: [0x18,0x08,0x68,0xcc,0x00,0x11,0x72,0x1c]
// WAVESIZE-ERR: :[[@LINE-3]]:1: error: instruction requires wavesize=32

v_swmmac_bf16_16x16x64_bf16 v[24:27], v[0:7], v[8:23], v28 neg_lo:[1,0,0] neg_hi:[1,0,0]
// GFX12-ERR: :[[@LINE-1]]:1: error: instruction not supported on this GPU (gfx1200): v_swmmac_bf16_16x16x64_bf16
// GFX1250: v_swmmac_bf16_16x16x64_bf16 v[24:27], v[0:7], v[8:23], v28 neg_lo:[1,0,0] neg_hi:[1,0,0] ; encoding: [0x18,0x01,0x68,0xcc,0x00,0x11,0x72,0x3c]
// WAVESIZE-ERR: :[[@LINE-3]]:1: error: instruction requires wavesize=32

v_swmmac_bf16_16x16x64_bf16 v[24:27], v[0:7], v[8:23], v28 neg_lo:[0,1,0] neg_hi:[0,1,0]
// GFX12-ERR: :[[@LINE-1]]:1: error: instruction not supported on this GPU (gfx1200): v_swmmac_bf16_16x16x64_bf16
// GFX1250: v_swmmac_bf16_16x16x64_bf16 v[24:27], v[0:7], v[8:23], v28 neg_lo:[0,1,0] neg_hi:[0,1,0] ; encoding: [0x18,0x02,0x68,0xcc,0x00,0x11,0x72,0x5c]
// WAVESIZE-ERR: :[[@LINE-3]]:1: error: instruction requires wavesize=32

v_swmmac_f32_16x16x64_bf16 v[24:31], v[0:7], v[8:23], v32 matrix_a_reuse
// GFX12-ERR: :[[@LINE-1]]:1: error: instruction not supported on this GPU (gfx1200): v_swmmac_f32_16x16x64_bf16
// GFX1250: v_swmmac_f32_16x16x64_bf16 v[24:31], v[0:7], v[8:23], v32 matrix_a_reuse ; encoding: [0x18,0x20,0x66,0xcc,0x00,0x11,0x82,0x1c]
// WAVESIZE-ERR: :[[@LINE-3]]:1: error: instruction requires wavesize=32

v_swmmac_f32_16x16x64_bf16 v[24:31], v[0:7], v[8:23], v32 matrix_b_reuse
// GFX12-ERR: :[[@LINE-1]]:1: error: instruction not supported on this GPU (gfx1200): v_swmmac_f32_16x16x64_bf16
// GFX1250: v_swmmac_f32_16x16x64_bf16 v[24:31], v[0:7], v[8:23], v32 matrix_b_reuse ; encoding: [0x18,0x40,0x66,0xcc,0x00,0x11,0x82,0x1c]
// WAVESIZE-ERR: :[[@LINE-3]]:1: error: instruction requires wavesize=32

v_swmmac_bf16f32_16x16x64_bf16 v[24:31], v[0:7], v[8:23], v32
// GFX12-ERR: :[[@LINE-1]]:1: error: instruction not supported on this GPU (gfx1200): v_swmmac_bf16f32_16x16x64_bf16
// GFX1250: v_swmmac_bf16f32_16x16x64_bf16 v[24:31], v[0:7], v[8:23], v32 ; encoding: [0x18,0x00,0x69,0xcc,0x00,0x11,0x82,0x1c]
// WAVESIZE-ERR: :[[@LINE-3]]:1: error: instruction requires wavesize=32

v_swmmac_bf16f32_16x16x64_bf16 v[24:31], v[0:7], v[8:23], v32 index_key:1
// GFX12-ERR: :[[@LINE-1]]:1: error: instruction not supported on this GPU (gfx1200): v_swmmac_bf16f32_16x16x64_bf16
// GFX1250: v_swmmac_bf16f32_16x16x64_bf16 v[24:31], v[0:7], v[8:23], v32 index_key:1 ; encoding: [0x18,0x08,0x69,0xcc,0x00,0x11,0x82,0x1c]
// WAVESIZE-ERR: :[[@LINE-3]]:1: error: instruction requires wavesize=32

v_swmmac_bf16f32_16x16x64_bf16 v[24:31], v[0:7], v[8:23], v32 neg_lo:[1,0,0] neg_hi:[1,0,0]
// GFX12-ERR: :[[@LINE-1]]:1: error: instruction not supported on this GPU (gfx1200): v_swmmac_bf16f32_16x16x64_bf16
// GFX1250: v_swmmac_bf16f32_16x16x64_bf16 v[24:31], v[0:7], v[8:23], v32 neg_lo:[1,0,0] neg_hi:[1,0,0] ; encoding: [0x18,0x01,0x69,0xcc,0x00,0x11,0x82,0x3c]
// WAVESIZE-ERR: :[[@LINE-3]]:1: error: instruction requires wavesize=32

v_swmmac_bf16f32_16x16x64_bf16 v[24:31], v[0:7], v[8:23], v32 neg_lo:[0,1,0] neg_hi:[0,1,0]
// GFX12-ERR: :[[@LINE-1]]:1: error: instruction not supported on this GPU (gfx1200): v_swmmac_bf16f32_16x16x64_bf16
// GFX1250: v_swmmac_bf16f32_16x16x64_bf16 v[24:31], v[0:7], v[8:23], v32 neg_lo:[0,1,0] neg_hi:[0,1,0] ; encoding: [0x18,0x02,0x69,0xcc,0x00,0x11,0x82,0x5c]
// WAVESIZE-ERR: :[[@LINE-3]]:1: error: instruction requires wavesize=32

v_swmmac_bf16f32_16x16x64_bf16 v[24:31], v[0:7], v[8:23], v32 matrix_a_reuse
// GFX12-ERR: :[[@LINE-1]]:1: error: instruction not supported on this GPU (gfx1200): v_swmmac_bf16f32_16x16x64_bf16
// GFX1250: v_swmmac_bf16f32_16x16x64_bf16 v[24:31], v[0:7], v[8:23], v32 matrix_a_reuse ; encoding: [0x18,0x20,0x69,0xcc,0x00,0x11,0x82,0x1c]
// WAVESIZE-ERR: :[[@LINE-3]]:1: error: instruction requires wavesize=32

v_swmmac_bf16f32_16x16x64_bf16 v[24:31], v[0:7], v[8:23], v32 matrix_b_reuse
// GFX12-ERR: :[[@LINE-1]]:1: error: instruction not supported on this GPU (gfx1200): v_swmmac_bf16f32_16x16x64_bf16
// GFX1250: v_swmmac_bf16f32_16x16x64_bf16 v[24:31], v[0:7], v[8:23], v32 matrix_b_reuse ; encoding: [0x18,0x40,0x69,0xcc,0x00,0x11,0x82,0x1c]
// WAVESIZE-ERR: :[[@LINE-3]]:1: error: instruction requires wavesize=32

v_swmmac_f32_16x16x128_fp8_fp8 v[24:31], v[0:7], v[8:23], v[32:33]
// GFX12-ERR: :[[@LINE-1]]:1: error: instruction not supported on this GPU (gfx1200): v_swmmac_f32_16x16x128_fp8_fp8
// GFX1250: v_swmmac_f32_16x16x128_fp8_fp8 v[24:31], v[0:7], v[8:23], v[32:33] ; encoding: [0x18,0x00,0x73,0xcc,0x00,0x11,0x82,0x1c]
// WAVESIZE-ERR: :[[@LINE-3]]:1: error: instruction requires wavesize=32

v_swmmac_f32_16x16x128_fp8_fp8 v[24:31], v[0:7], v[8:23], v[32:33] index_key:1
// GFX12-ERR: :[[@LINE-1]]:1: error: instruction not supported on this GPU (gfx1200): v_swmmac_f32_16x16x128_fp8_fp8
// GFX1250: v_swmmac_f32_16x16x128_fp8_fp8 v[24:31], v[0:7], v[8:23], v[32:33] index_key:1 ; encoding: [0x18,0x08,0x73,0xcc,0x00,0x11,0x82,0x1c]
// WAVESIZE-ERR: :[[@LINE-3]]:1: error: instruction requires wavesize=32

v_swmmac_f32_16x16x128_fp8_fp8 v[24:31], v[0:7], v[8:23], v[32:33] matrix_a_reuse
// GFX12-ERR: :[[@LINE-1]]:1: error: instruction not supported on this GPU (gfx1200): v_swmmac_f32_16x16x128_fp8_fp8
// GFX1250: v_swmmac_f32_16x16x128_fp8_fp8 v[24:31], v[0:7], v[8:23], v[32:33] matrix_a_reuse ; encoding: [0x18,0x20,0x73,0xcc,0x00,0x11,0x82,0x1c]
// WAVESIZE-ERR: :[[@LINE-3]]:1: error: instruction requires wavesize=32

v_swmmac_f32_16x16x128_fp8_fp8 v[24:31], v[0:7], v[8:23], v[32:33] matrix_b_reuse
// GFX12-ERR: :[[@LINE-1]]:1: error: instruction not supported on this GPU (gfx1200): v_swmmac_f32_16x16x128_fp8_fp8
// GFX1250: v_swmmac_f32_16x16x128_fp8_fp8 v[24:31], v[0:7], v[8:23], v[32:33] matrix_b_reuse ; encoding: [0x18,0x40,0x73,0xcc,0x00,0x11,0x82,0x1c]
// WAVESIZE-ERR: :[[@LINE-3]]:1: error: instruction requires wavesize=32

v_swmmac_f32_16x16x128_fp8_bf8 v[24:31], v[0:7], v[8:23], v[32:33]
// GFX12-ERR: :[[@LINE-1]]:1: error: instruction not supported on this GPU (gfx1200): v_swmmac_f32_16x16x128_fp8_bf8
// GFX1250: v_swmmac_f32_16x16x128_fp8_bf8 v[24:31], v[0:7], v[8:23], v[32:33] ; encoding: [0x18,0x00,0x74,0xcc,0x00,0x11,0x82,0x1c]
// WAVESIZE-ERR: :[[@LINE-3]]:1: error: instruction requires wavesize=32

v_swmmac_f32_16x16x128_fp8_bf8 v[24:31], v[0:7], v[8:23], v[32:33] index_key:1
// GFX12-ERR: :[[@LINE-1]]:1: error: instruction not supported on this GPU (gfx1200): v_swmmac_f32_16x16x128_fp8_bf8
// GFX1250: v_swmmac_f32_16x16x128_fp8_bf8 v[24:31], v[0:7], v[8:23], v[32:33] index_key:1 ; encoding: [0x18,0x08,0x74,0xcc,0x00,0x11,0x82,0x1c]
// WAVESIZE-ERR: :[[@LINE-3]]:1: error: instruction requires wavesize=32

v_swmmac_f32_16x16x128_fp8_bf8 v[24:31], v[0:7], v[8:23], v[32:33] matrix_a_reuse
// GFX12-ERR: :[[@LINE-1]]:1: error: instruction not supported on this GPU (gfx1200): v_swmmac_f32_16x16x128_fp8_bf8
// GFX1250: v_swmmac_f32_16x16x128_fp8_bf8 v[24:31], v[0:7], v[8:23], v[32:33] matrix_a_reuse ; encoding: [0x18,0x20,0x74,0xcc,0x00,0x11,0x82,0x1c]
// WAVESIZE-ERR: :[[@LINE-3]]:1: error: instruction requires wavesize=32

v_swmmac_f32_16x16x128_fp8_bf8 v[24:31], v[0:7], v[8:23], v[32:33] matrix_b_reuse
// GFX12-ERR: :[[@LINE-1]]:1: error: instruction not supported on this GPU (gfx1200): v_swmmac_f32_16x16x128_fp8_bf8
// GFX1250: v_swmmac_f32_16x16x128_fp8_bf8 v[24:31], v[0:7], v[8:23], v[32:33] matrix_b_reuse ; encoding: [0x18,0x40,0x74,0xcc,0x00,0x11,0x82,0x1c]
// WAVESIZE-ERR: :[[@LINE-3]]:1: error: instruction requires wavesize=32

v_swmmac_f32_16x16x128_bf8_fp8 v[24:31], v[0:7], v[8:23], v[32:33]
// GFX12-ERR: :[[@LINE-1]]:1: error: instruction not supported on this GPU (gfx1200): v_swmmac_f32_16x16x128_bf8_fp8
// GFX1250: v_swmmac_f32_16x16x128_bf8_fp8 v[24:31], v[0:7], v[8:23], v[32:33] ; encoding: [0x18,0x00,0x75,0xcc,0x00,0x11,0x82,0x1c]
// WAVESIZE-ERR: :[[@LINE-3]]:1: error: instruction requires wavesize=32

v_swmmac_f32_16x16x128_bf8_fp8 v[24:31], v[0:7], v[8:23], v[32:33] index_key:1
// GFX12-ERR: :[[@LINE-1]]:1: error: instruction not supported on this GPU (gfx1200): v_swmmac_f32_16x16x128_bf8_fp8
// GFX1250: v_swmmac_f32_16x16x128_bf8_fp8 v[24:31], v[0:7], v[8:23], v[32:33] index_key:1 ; encoding: [0x18,0x08,0x75,0xcc,0x00,0x11,0x82,0x1c]
// WAVESIZE-ERR: :[[@LINE-3]]:1: error: instruction requires wavesize=32

v_swmmac_f32_16x16x128_bf8_fp8 v[24:31], v[0:7], v[8:23], v[32:33] matrix_a_reuse
// GFX12-ERR: :[[@LINE-1]]:1: error: instruction not supported on this GPU (gfx1200): v_swmmac_f32_16x16x128_bf8_fp8
// GFX1250: v_swmmac_f32_16x16x128_bf8_fp8 v[24:31], v[0:7], v[8:23], v[32:33] matrix_a_reuse ; encoding: [0x18,0x20,0x75,0xcc,0x00,0x11,0x82,0x1c]
// WAVESIZE-ERR: :[[@LINE-3]]:1: error: instruction requires wavesize=32

v_swmmac_f32_16x16x128_bf8_fp8 v[24:31], v[0:7], v[8:23], v[32:33] matrix_b_reuse
// GFX12-ERR: :[[@LINE-1]]:1: error: instruction not supported on this GPU (gfx1200): v_swmmac_f32_16x16x128_bf8_fp8
// GFX1250: v_swmmac_f32_16x16x128_bf8_fp8 v[24:31], v[0:7], v[8:23], v[32:33] matrix_b_reuse ; encoding: [0x18,0x40,0x75,0xcc,0x00,0x11,0x82,0x1c]
// WAVESIZE-ERR: :[[@LINE-3]]:1: error: instruction requires wavesize=32

v_swmmac_f32_16x16x128_bf8_bf8 v[24:31], v[0:7], v[8:23], v[32:33]
// GFX12-ERR: :[[@LINE-1]]:1: error: instruction not supported on this GPU (gfx1200): v_swmmac_f32_16x16x128_bf8_bf8
// GFX1250: v_swmmac_f32_16x16x128_bf8_bf8 v[24:31], v[0:7], v[8:23], v[32:33] ; encoding: [0x18,0x00,0x76,0xcc,0x00,0x11,0x82,0x1c]
// WAVESIZE-ERR: :[[@LINE-3]]:1: error: instruction requires wavesize=32

v_swmmac_f32_16x16x128_bf8_bf8 v[24:31], v[0:7], v[8:23], v[32:33] index_key:1
// GFX12-ERR: :[[@LINE-1]]:1: error: instruction not supported on this GPU (gfx1200): v_swmmac_f32_16x16x128_bf8_bf8
// GFX1250: v_swmmac_f32_16x16x128_bf8_bf8 v[24:31], v[0:7], v[8:23], v[32:33] index_key:1 ; encoding: [0x18,0x08,0x76,0xcc,0x00,0x11,0x82,0x1c]
// WAVESIZE-ERR: :[[@LINE-3]]:1: error: instruction requires wavesize=32

v_swmmac_f32_16x16x128_bf8_bf8 v[24:31], v[0:7], v[8:23], v[32:33] matrix_a_reuse
// GFX12-ERR: :[[@LINE-1]]:1: error: instruction not supported on this GPU (gfx1200): v_swmmac_f32_16x16x128_bf8_bf8
// GFX1250: v_swmmac_f32_16x16x128_bf8_bf8 v[24:31], v[0:7], v[8:23], v[32:33] matrix_a_reuse ; encoding: [0x18,0x20,0x76,0xcc,0x00,0x11,0x82,0x1c]
// WAVESIZE-ERR: :[[@LINE-3]]:1: error: instruction requires wavesize=32

v_swmmac_f32_16x16x128_bf8_bf8 v[24:31], v[0:7], v[8:23], v[32:33] matrix_b_reuse
// GFX12-ERR: :[[@LINE-1]]:1: error: instruction not supported on this GPU (gfx1200): v_swmmac_f32_16x16x128_bf8_bf8
// GFX1250: v_swmmac_f32_16x16x128_bf8_bf8 v[24:31], v[0:7], v[8:23], v[32:33] matrix_b_reuse ; encoding: [0x18,0x40,0x76,0xcc,0x00,0x11,0x82,0x1c]
// WAVESIZE-ERR: :[[@LINE-3]]:1: error: instruction requires wavesize=32

v_swmmac_f16_16x16x128_fp8_fp8 v[24:27], v[0:7], v[8:23], v[28:29]
// GFX12-ERR: :[[@LINE-1]]:1: error: instruction not supported on this GPU (gfx1200): v_swmmac_f16_16x16x128_fp8_fp8
// GFX1250: v_swmmac_f16_16x16x128_fp8_fp8 v[24:27], v[0:7], v[8:23], v[28:29] ; encoding: [0x18,0x00,0x77,0xcc,0x00,0x11,0x72,0x1c]
// WAVESIZE-ERR: :[[@LINE-3]]:1: error: instruction requires wavesize=32

v_swmmac_f16_16x16x128_fp8_fp8 v[24:27], v[0:7], v[8:23], v[28:29] index_key:1
// GFX12-ERR: :[[@LINE-1]]:1: error: instruction not supported on this GPU (gfx1200): v_swmmac_f16_16x16x128_fp8_fp8
// GFX1250: v_swmmac_f16_16x16x128_fp8_fp8 v[24:27], v[0:7], v[8:23], v[28:29] index_key:1 ; encoding: [0x18,0x08,0x77,0xcc,0x00,0x11,0x72,0x1c]
// WAVESIZE-ERR: :[[@LINE-3]]:1: error: instruction requires wavesize=32

v_swmmac_f16_16x16x128_fp8_fp8 v[24:27], v[0:7], v[8:23], v[28:29] matrix_a_reuse
// GFX12-ERR: :[[@LINE-1]]:1: error: instruction not supported on this GPU (gfx1200): v_swmmac_f16_16x16x128_fp8_fp8
// GFX1250: v_swmmac_f16_16x16x128_fp8_fp8 v[24:27], v[0:7], v[8:23], v[28:29] matrix_a_reuse ; encoding: [0x18,0x20,0x77,0xcc,0x00,0x11,0x72,0x1c]
// WAVESIZE-ERR: :[[@LINE-3]]:1: error: instruction requires wavesize=32

v_swmmac_f16_16x16x128_fp8_fp8 v[24:27], v[0:7], v[8:23], v[28:29] matrix_b_reuse
// GFX12-ERR: :[[@LINE-1]]:1: error: instruction not supported on this GPU (gfx1200): v_swmmac_f16_16x16x128_fp8_fp8
// GFX1250: v_swmmac_f16_16x16x128_fp8_fp8 v[24:27], v[0:7], v[8:23], v[28:29] matrix_b_reuse ; encoding: [0x18,0x40,0x77,0xcc,0x00,0x11,0x72,0x1c]
// WAVESIZE-ERR: :[[@LINE-3]]:1: error: instruction requires wavesize=32

v_swmmac_f16_16x16x128_fp8_bf8 v[24:27], v[0:7], v[8:23], v[28:29]
// GFX12-ERR: :[[@LINE-1]]:1: error: instruction not supported on this GPU (gfx1200): v_swmmac_f16_16x16x128_fp8_bf8
// GFX1250: v_swmmac_f16_16x16x128_fp8_bf8 v[24:27], v[0:7], v[8:23], v[28:29] ; encoding: [0x18,0x00,0x78,0xcc,0x00,0x11,0x72,0x1c]
// WAVESIZE-ERR: :[[@LINE-3]]:1: error: instruction requires wavesize=32

v_swmmac_f16_16x16x128_fp8_bf8 v[24:27], v[0:7], v[8:23], v[28:29] index_key:1
// GFX12-ERR: :[[@LINE-1]]:1: error: instruction not supported on this GPU (gfx1200): v_swmmac_f16_16x16x128_fp8_bf8
// GFX1250: v_swmmac_f16_16x16x128_fp8_bf8 v[24:27], v[0:7], v[8:23], v[28:29] index_key:1 ; encoding: [0x18,0x08,0x78,0xcc,0x00,0x11,0x72,0x1c]
// WAVESIZE-ERR: :[[@LINE-3]]:1: error: instruction requires wavesize=32

v_swmmac_f16_16x16x128_fp8_bf8 v[24:27], v[0:7], v[8:23], v[28:29] matrix_a_reuse
// GFX12-ERR: :[[@LINE-1]]:1: error: instruction not supported on this GPU (gfx1200): v_swmmac_f16_16x16x128_fp8_bf8
// GFX1250: v_swmmac_f16_16x16x128_fp8_bf8 v[24:27], v[0:7], v[8:23], v[28:29] matrix_a_reuse ; encoding: [0x18,0x20,0x78,0xcc,0x00,0x11,0x72,0x1c]
// WAVESIZE-ERR: :[[@LINE-3]]:1: error: instruction requires wavesize=32

v_swmmac_f16_16x16x128_fp8_bf8 v[24:27], v[0:7], v[8:23], v[28:29] matrix_b_reuse
// GFX12-ERR: :[[@LINE-1]]:1: error: instruction not supported on this GPU (gfx1200): v_swmmac_f16_16x16x128_fp8_bf8
// GFX1250: v_swmmac_f16_16x16x128_fp8_bf8 v[24:27], v[0:7], v[8:23], v[28:29] matrix_b_reuse ; encoding: [0x18,0x40,0x78,0xcc,0x00,0x11,0x72,0x1c]
// WAVESIZE-ERR: :[[@LINE-3]]:1: error: instruction requires wavesize=32

v_swmmac_f16_16x16x128_bf8_fp8 v[24:27], v[0:7], v[8:23], v[28:29]
// GFX12-ERR: :[[@LINE-1]]:1: error: instruction not supported on this GPU (gfx1200): v_swmmac_f16_16x16x128_bf8_fp8
// GFX1250: v_swmmac_f16_16x16x128_bf8_fp8 v[24:27], v[0:7], v[8:23], v[28:29] ; encoding: [0x18,0x00,0x79,0xcc,0x00,0x11,0x72,0x1c]
// WAVESIZE-ERR: :[[@LINE-3]]:1: error: instruction requires wavesize=32

v_swmmac_f16_16x16x128_bf8_fp8 v[24:27], v[0:7], v[8:23], v[28:29] index_key:1
// GFX12-ERR: :[[@LINE-1]]:1: error: instruction not supported on this GPU (gfx1200): v_swmmac_f16_16x16x128_bf8_fp8
// GFX1250: v_swmmac_f16_16x16x128_bf8_fp8 v[24:27], v[0:7], v[8:23], v[28:29] index_key:1 ; encoding: [0x18,0x08,0x79,0xcc,0x00,0x11,0x72,0x1c]
// WAVESIZE-ERR: :[[@LINE-3]]:1: error: instruction requires wavesize=32

v_swmmac_f16_16x16x128_bf8_fp8 v[24:27], v[0:7], v[8:23], v[28:29] matrix_a_reuse
// GFX12-ERR: :[[@LINE-1]]:1: error: instruction not supported on this GPU (gfx1200): v_swmmac_f16_16x16x128_bf8_fp8
// GFX1250: v_swmmac_f16_16x16x128_bf8_fp8 v[24:27], v[0:7], v[8:23], v[28:29] matrix_a_reuse ; encoding: [0x18,0x20,0x79,0xcc,0x00,0x11,0x72,0x1c]
// WAVESIZE-ERR: :[[@LINE-3]]:1: error: instruction requires wavesize=32

v_swmmac_f16_16x16x128_bf8_fp8 v[24:27], v[0:7], v[8:23], v[28:29] matrix_b_reuse
// GFX12-ERR: :[[@LINE-1]]:1: error: instruction not supported on this GPU (gfx1200): v_swmmac_f16_16x16x128_bf8_fp8
// GFX1250: v_swmmac_f16_16x16x128_bf8_fp8 v[24:27], v[0:7], v[8:23], v[28:29] matrix_b_reuse ; encoding: [0x18,0x40,0x79,0xcc,0x00,0x11,0x72,0x1c]
// WAVESIZE-ERR: :[[@LINE-3]]:1: error: instruction requires wavesize=32

v_swmmac_f16_16x16x128_bf8_bf8 v[24:27], v[0:7], v[8:23], v[28:29]
// GFX12-ERR: :[[@LINE-1]]:1: error: instruction not supported on this GPU (gfx1200): v_swmmac_f16_16x16x128_bf8_bf8
// GFX1250: v_swmmac_f16_16x16x128_bf8_bf8 v[24:27], v[0:7], v[8:23], v[28:29] ; encoding: [0x18,0x00,0x7a,0xcc,0x00,0x11,0x72,0x1c]
// WAVESIZE-ERR: :[[@LINE-3]]:1: error: instruction requires wavesize=32

v_swmmac_f16_16x16x128_bf8_bf8 v[24:27], v[0:7], v[8:23], v[28:29] index_key:1
// GFX12-ERR: :[[@LINE-1]]:1: error: instruction not supported on this GPU (gfx1200): v_swmmac_f16_16x16x128_bf8_bf8
// GFX1250: v_swmmac_f16_16x16x128_bf8_bf8 v[24:27], v[0:7], v[8:23], v[28:29] index_key:1 ; encoding: [0x18,0x08,0x7a,0xcc,0x00,0x11,0x72,0x1c]
// WAVESIZE-ERR: :[[@LINE-3]]:1: error: instruction requires wavesize=32

v_swmmac_f16_16x16x128_bf8_bf8 v[24:27], v[0:7], v[8:23], v[28:29] matrix_a_reuse
// GFX12-ERR: :[[@LINE-1]]:1: error: instruction not supported on this GPU (gfx1200): v_swmmac_f16_16x16x128_bf8_bf8
// GFX1250: v_swmmac_f16_16x16x128_bf8_bf8 v[24:27], v[0:7], v[8:23], v[28:29] matrix_a_reuse ; encoding: [0x18,0x20,0x7a,0xcc,0x00,0x11,0x72,0x1c]
// WAVESIZE-ERR: :[[@LINE-3]]:1: error: instruction requires wavesize=32

v_swmmac_f16_16x16x128_bf8_bf8 v[24:27], v[0:7], v[8:23], v[28:29] matrix_b_reuse
// GFX12-ERR: :[[@LINE-1]]:1: error: instruction not supported on this GPU (gfx1200): v_swmmac_f16_16x16x128_bf8_bf8
// GFX1250: v_swmmac_f16_16x16x128_bf8_bf8 v[24:27], v[0:7], v[8:23], v[28:29] matrix_b_reuse ; encoding: [0x18,0x40,0x7a,0xcc,0x00,0x11,0x72,0x1c]
// WAVESIZE-ERR: :[[@LINE-3]]:1: error: instruction requires wavesize=32

v_swmmac_i32_16x16x128_iu8 v[24:31], v[0:7], v[8:23], v[32:33]
// GFX12-ERR: :[[@LINE-1]]:1: error: instruction not supported on this GPU (gfx1200): v_swmmac_i32_16x16x128_iu8
// GFX1250: v_swmmac_i32_16x16x128_iu8 v[24:31], v[0:7], v[8:23], v[32:33] ; encoding: [0x18,0x00,0x7b,0xcc,0x00,0x11,0x82,0x1c]
// WAVESIZE-ERR: :[[@LINE-3]]:1: error: instruction requires wavesize=32

v_swmmac_i32_16x16x128_iu8 v[24:31], v[0:7], v[8:23], v[32:33] index_key:1
// GFX12-ERR: :[[@LINE-1]]:1: error: instruction not supported on this GPU (gfx1200): v_swmmac_i32_16x16x128_iu8
// GFX1250: v_swmmac_i32_16x16x128_iu8 v[24:31], v[0:7], v[8:23], v[32:33] index_key:1 ; encoding: [0x18,0x08,0x7b,0xcc,0x00,0x11,0x82,0x1c]
// WAVESIZE-ERR: :[[@LINE-3]]:1: error: instruction requires wavesize=32

v_swmmac_i32_16x16x128_iu8 v[24:31], v[0:7], v[8:23], v[32:33] neg_lo:[1,0,0]
// GFX12-ERR: :[[@LINE-1]]:1: error: instruction not supported on this GPU (gfx1200): v_swmmac_i32_16x16x128_iu8
// GFX1250: v_swmmac_i32_16x16x128_iu8 v[24:31], v[0:7], v[8:23], v[32:33] neg_lo:[1,0,0] ; encoding: [0x18,0x00,0x7b,0xcc,0x00,0x11,0x82,0x3c]
// WAVESIZE-ERR: :[[@LINE-3]]:1: error: instruction requires wavesize=32

v_swmmac_i32_16x16x128_iu8 v[24:31], v[0:7], v[8:23], v[32:33] neg_lo:[0,1,0]
// GFX12-ERR: :[[@LINE-1]]:1: error: instruction not supported on this GPU (gfx1200): v_swmmac_i32_16x16x128_iu8
// GFX1250: v_swmmac_i32_16x16x128_iu8 v[24:31], v[0:7], v[8:23], v[32:33] neg_lo:[0,1,0] ; encoding: [0x18,0x00,0x7b,0xcc,0x00,0x11,0x82,0x5c]
// WAVESIZE-ERR: :[[@LINE-3]]:1: error: instruction requires wavesize=32

v_swmmac_i32_16x16x128_iu8 v[24:31], v[0:7], v[8:23], v[32:33] matrix_a_reuse
// GFX12-ERR: :[[@LINE-1]]:1: error: instruction not supported on this GPU (gfx1200): v_swmmac_i32_16x16x128_iu8
// GFX1250: v_swmmac_i32_16x16x128_iu8 v[24:31], v[0:7], v[8:23], v[32:33] matrix_a_reuse ; encoding: [0x18,0x20,0x7b,0xcc,0x00,0x11,0x82,0x1c]
// WAVESIZE-ERR: :[[@LINE-3]]:1: error: instruction requires wavesize=32

v_swmmac_i32_16x16x128_iu8 v[24:31], v[0:7], v[8:23], v[32:33] matrix_b_reuse
// GFX12-ERR: :[[@LINE-1]]:1: error: instruction not supported on this GPU (gfx1200): v_swmmac_i32_16x16x128_iu8
// GFX1250: v_swmmac_i32_16x16x128_iu8 v[24:31], v[0:7], v[8:23], v[32:33] matrix_b_reuse ; encoding: [0x18,0x40,0x7b,0xcc,0x00,0x11,0x82,0x1c]
// WAVESIZE-ERR: :[[@LINE-3]]:1: error: instruction requires wavesize=32

v_swmmac_i32_16x16x128_iu8 v[24:31], v[0:7], v[8:23], v[32:33] clamp
// GFX12-ERR: :[[@LINE-1]]:1: error: instruction not supported on this GPU (gfx1200): v_swmmac_i32_16x16x128_iu8
// GFX1250: v_swmmac_i32_16x16x128_iu8 v[24:31], v[0:7], v[8:23], v[32:33] clamp ; encoding: [0x18,0x80,0x7b,0xcc,0x00,0x11,0x82,0x1c]
// WAVESIZE-ERR: :[[@LINE-3]]:1: error: instruction requires wavesize=32

v_swmmac_f32_16x16x64_f16 v[24:31], v[0:7], v[8:23], v32
// GFX12-ERR: :[[@LINE-1]]:1: error: instruction not supported on this GPU (gfx1200): v_swmmac_f32_16x16x64_f16
// GFX1250: v_swmmac_f32_16x16x64_f16 v[24:31], v[0:7], v[8:23], v32 ; encoding: [0x18,0x00,0x65,0xcc,0x00,0x11,0x82,0x1c]
// WAVESIZE-ERR: :[[@LINE-3]]:1: error: instruction requires wavesize=32

v_swmmac_f32_16x16x64_f16 v[24:31], v[0:7], v[8:23], v32 index_key:1
// GFX12-ERR: :[[@LINE-1]]:1: error: instruction not supported on this GPU (gfx1200): v_swmmac_f32_16x16x64_f16
// GFX1250: v_swmmac_f32_16x16x64_f16 v[24:31], v[0:7], v[8:23], v32 index_key:1 ; encoding: [0x18,0x08,0x65,0xcc,0x00,0x11,0x82,0x1c]
// WAVESIZE-ERR: :[[@LINE-3]]:1: error: instruction requires wavesize=32

v_swmmac_f32_16x16x64_f16 v[24:31], v[0:7], v[8:23], v32 neg_lo:[1,0,0] neg_hi:[1,0,0]
// GFX12-ERR: :[[@LINE-1]]:1: error: instruction not supported on this GPU (gfx1200): v_swmmac_f32_16x16x64_f16
// GFX1250: v_swmmac_f32_16x16x64_f16 v[24:31], v[0:7], v[8:23], v32 neg_lo:[1,0,0] neg_hi:[1,0,0] ; encoding: [0x18,0x01,0x65,0xcc,0x00,0x11,0x82,0x3c]
// WAVESIZE-ERR: :[[@LINE-3]]:1: error: instruction requires wavesize=32

v_swmmac_f32_16x16x64_f16 v[24:31], v[0:7], v[8:23], v32 neg_lo:[0,1,0] neg_hi:[0,1,0]
// GFX12-ERR: :[[@LINE-1]]:1: error: instruction not supported on this GPU (gfx1200): v_swmmac_f32_16x16x64_f16
// GFX1250: v_swmmac_f32_16x16x64_f16 v[24:31], v[0:7], v[8:23], v32 neg_lo:[0,1,0] neg_hi:[0,1,0] ; encoding: [0x18,0x02,0x65,0xcc,0x00,0x11,0x82,0x5c]
// WAVESIZE-ERR: :[[@LINE-3]]:1: error: instruction requires wavesize=32

v_swmmac_f32_16x16x64_f16 v[24:31], v[0:7], v[8:23], v32 matrix_a_reuse
// GFX12-ERR: :[[@LINE-1]]:1: error: instruction not supported on this GPU (gfx1200): v_swmmac_f32_16x16x64_f16
// GFX1250: v_swmmac_f32_16x16x64_f16 v[24:31], v[0:7], v[8:23], v32 matrix_a_reuse ; encoding: [0x18,0x20,0x65,0xcc,0x00,0x11,0x82,0x1c]
// WAVESIZE-ERR: :[[@LINE-3]]:1: error: instruction requires wavesize=32

v_swmmac_f32_16x16x64_f16 v[24:31], v[0:7], v[8:23], v32 matrix_b_reuse
// GFX12-ERR: :[[@LINE-1]]:1: error: instruction not supported on this GPU (gfx1200): v_swmmac_f32_16x16x64_f16
// GFX1250: v_swmmac_f32_16x16x64_f16 v[24:31], v[0:7], v[8:23], v32 matrix_b_reuse ; encoding: [0x18,0x40,0x65,0xcc,0x00,0x11,0x82,0x1c]
// WAVESIZE-ERR: :[[@LINE-3]]:1: error: instruction requires wavesize=32

v_swmmac_f16_16x16x64_f16 v[24:27], v[0:7], v[8:23], v28
// GFX12-ERR: :[[@LINE-1]]:1: error: instruction not supported on this GPU (gfx1200): v_swmmac_f16_16x16x64_f16
// GFX1250: v_swmmac_f16_16x16x64_f16 v[24:27], v[0:7], v[8:23], v28 ; encoding: [0x18,0x00,0x67,0xcc,0x00,0x11,0x72,0x1c]
// WAVESIZE-ERR: :[[@LINE-3]]:1: error: instruction requires wavesize=32

v_swmmac_f16_16x16x64_f16 v[24:27], v[0:7], v[8:23], v28 index_key:1
// GFX12-ERR: :[[@LINE-1]]:1: error: instruction not supported on this GPU (gfx1200): v_swmmac_f16_16x16x64_f16
// GFX1250: v_swmmac_f16_16x16x64_f16 v[24:27], v[0:7], v[8:23], v28 index_key:1 ; encoding: [0x18,0x08,0x67,0xcc,0x00,0x11,0x72,0x1c]
// WAVESIZE-ERR: :[[@LINE-3]]:1: error: instruction requires wavesize=32

v_swmmac_f16_16x16x64_f16 v[24:27], v[0:7], v[8:23], v28 neg_lo:[1,0,0] neg_hi:[1,0,0]
// GFX12-ERR: :[[@LINE-1]]:1: error: instruction not supported on this GPU (gfx1200): v_swmmac_f16_16x16x64_f16
// GFX1250: v_swmmac_f16_16x16x64_f16 v[24:27], v[0:7], v[8:23], v28 neg_lo:[1,0,0] neg_hi:[1,0,0] ; encoding: [0x18,0x01,0x67,0xcc,0x00,0x11,0x72,0x3c]
// WAVESIZE-ERR: :[[@LINE-3]]:1: error: instruction requires wavesize=32

v_swmmac_f16_16x16x64_f16 v[24:27], v[0:7], v[8:23], v28 neg_lo:[0,1,0] neg_hi:[0,1,0]
// GFX12-ERR: :[[@LINE-1]]:1: error: instruction not supported on this GPU (gfx1200): v_swmmac_f16_16x16x64_f16
// GFX1250: v_swmmac_f16_16x16x64_f16 v[24:27], v[0:7], v[8:23], v28 neg_lo:[0,1,0] neg_hi:[0,1,0] ; encoding: [0x18,0x02,0x67,0xcc,0x00,0x11,0x72,0x5c]
// WAVESIZE-ERR: :[[@LINE-3]]:1: error: instruction requires wavesize=32

v_swmmac_f16_16x16x64_f16 v[24:27], v[0:7], v[8:23], v28 matrix_a_reuse
// GFX12-ERR: :[[@LINE-1]]:1: error: instruction not supported on this GPU (gfx1200): v_swmmac_f16_16x16x64_f16
// GFX1250: v_swmmac_f16_16x16x64_f16 v[24:27], v[0:7], v[8:23], v28 matrix_a_reuse ; encoding: [0x18,0x20,0x67,0xcc,0x00,0x11,0x72,0x1c]
// WAVESIZE-ERR: :[[@LINE-3]]:1: error: instruction requires wavesize=32

v_swmmac_f16_16x16x64_f16 v[24:27], v[0:7], v[8:23], v28 matrix_b_reuse
// GFX12-ERR: :[[@LINE-1]]:1: error: instruction not supported on this GPU (gfx1200): v_swmmac_f16_16x16x64_f16
// GFX1250: v_swmmac_f16_16x16x64_f16 v[24:27], v[0:7], v[8:23], v28 matrix_b_reuse ; encoding: [0x18,0x40,0x67,0xcc,0x00,0x11,0x72,0x1c]
// WAVESIZE-ERR: :[[@LINE-3]]:1: error: instruction requires wavesize=32

v_wmma_f32_16x16x128_f8f6f4 v[0:7], v[8:23], v[24:39], v[40:47]
// GFX12-ERR: :[[@LINE-1]]:1: error: instruction not supported on this GPU (gfx1200): v_wmma_f32_16x16x128_f8f6f4
// GFX1250: v_wmma_f32_16x16x128_f8f6f4 v[0:7], v[8:23], v[24:39], v[40:47] ; encoding: [0x00,0x00,0x33,0xcc,0x08,0x31,0xa2,0x04]
// WAVESIZE-ERR: :[[@LINE-3]]:1: error: instruction requires wavesize=32

v_wmma_f32_16x16x128_f8f6f4 v[0:7], v[8:23], v[24:39], v[40:47] matrix_a_fmt:MATRIX_FMT_BF8
// GFX12-ERR: :[[@LINE-1]]:1: error: instruction not supported on this GPU (gfx1200): v_wmma_f32_16x16x128_f8f6f4
// GFX1250: v_wmma_f32_16x16x128_f8f6f4 v[0:7], v[8:23], v[24:39], v[40:47] matrix_a_fmt:MATRIX_FMT_BF8 ; encoding: [0x00,0x08,0x33,0xcc,0x08,0x31,0xa2,0x04]
// WAVESIZE-ERR: :[[@LINE-3]]:1: error: instruction requires wavesize=32

v_wmma_f32_16x16x128_f8f6f4 v[0:7], v[8:19], v[24:39], v[40:47] matrix_a_fmt:MATRIX_FMT_FP6
// GFX12-ERR: :[[@LINE-1]]:1: error: instruction not supported on this GPU (gfx1200): v_wmma_f32_16x16x128_f8f6f4
// GFX1250: v_wmma_f32_16x16x128_f8f6f4 v[0:7], v[8:19], v[24:39], v[40:47] matrix_a_fmt:MATRIX_FMT_FP6 ; encoding: [0x00,0x10,0x33,0xcc,0x08,0x31,0xa2,0x04]
// WAVESIZE-ERR: :[[@LINE-3]]:1: error: instruction requires wavesize=32

v_wmma_f32_16x16x128_f8f6f4 v[0:7], v[8:19], v[24:39], v[40:47] matrix_a_fmt:MATRIX_FMT_BF6
// GFX12-ERR: :[[@LINE-1]]:1: error: instruction not supported on this GPU (gfx1200): v_wmma_f32_16x16x128_f8f6f4
// GFX1250: v_wmma_f32_16x16x128_f8f6f4 v[0:7], v[8:19], v[24:39], v[40:47] matrix_a_fmt:MATRIX_FMT_BF6 ; encoding: [0x00,0x18,0x33,0xcc,0x08,0x31,0xa2,0x04]
// WAVESIZE-ERR: :[[@LINE-3]]:1: error: instruction requires wavesize=32

v_wmma_f32_16x16x128_f8f6f4 v[0:7], v[8:15], v[24:39], v[40:47] matrix_a_fmt:MATRIX_FMT_FP4
// GFX12-ERR: :[[@LINE-1]]:1: error: instruction not supported on this GPU (gfx1200): v_wmma_f32_16x16x128_f8f6f4
// GFX1250: v_wmma_f32_16x16x128_f8f6f4 v[0:7], v[8:15], v[24:39], v[40:47] matrix_a_fmt:MATRIX_FMT_FP4 ; encoding: [0x00,0x20,0x33,0xcc,0x08,0x31,0xa2,0x04]
// WAVESIZE-ERR: :[[@LINE-3]]:1: error: instruction requires wavesize=32

v_wmma_f32_16x16x128_f8f6f4 v[0:7], v[8:23], v[24:39], v[40:47] matrix_b_fmt:MATRIX_FMT_BF8
// GFX12-ERR: :[[@LINE-1]]:1: error: instruction not supported on this GPU (gfx1200): v_wmma_f32_16x16x128_f8f6f4
// GFX1250: v_wmma_f32_16x16x128_f8f6f4 v[0:7], v[8:23], v[24:39], v[40:47] matrix_b_fmt:MATRIX_FMT_BF8 ; encoding: [0x00,0x00,0x33,0xcc,0x08,0x31,0xa2,0x0c]
// WAVESIZE-ERR: :[[@LINE-3]]:1: error: instruction requires wavesize=32

v_wmma_f32_16x16x128_f8f6f4 v[0:7], v[8:23], v[24:35], v[40:47] matrix_b_fmt:MATRIX_FMT_FP6
// GFX12-ERR: :[[@LINE-1]]:1: error: instruction not supported on this GPU (gfx1200): v_wmma_f32_16x16x128_f8f6f4
// GFX1250: v_wmma_f32_16x16x128_f8f6f4 v[0:7], v[8:23], v[24:35], v[40:47] matrix_b_fmt:MATRIX_FMT_FP6 ; encoding: [0x00,0x00,0x33,0xcc,0x08,0x31,0xa2,0x14]
// WAVESIZE-ERR: :[[@LINE-3]]:1: error: instruction requires wavesize=32

v_wmma_f32_16x16x128_f8f6f4 v[0:7], v[8:23], v[24:35], v[40:47] matrix_b_fmt:MATRIX_FMT_BF6
// GFX12-ERR: :[[@LINE-1]]:1: error: instruction not supported on this GPU (gfx1200): v_wmma_f32_16x16x128_f8f6f4
// GFX1250: v_wmma_f32_16x16x128_f8f6f4 v[0:7], v[8:23], v[24:35], v[40:47] matrix_b_fmt:MATRIX_FMT_BF6 ; encoding: [0x00,0x00,0x33,0xcc,0x08,0x31,0xa2,0x1c]
// WAVESIZE-ERR: :[[@LINE-3]]:1: error: instruction requires wavesize=32

v_wmma_f32_16x16x128_f8f6f4 v[0:7], v[8:23], v[24:31], v[40:47] matrix_b_fmt:MATRIX_FMT_FP4
// GFX12-ERR: :[[@LINE-1]]:1: error: instruction not supported on this GPU (gfx1200): v_wmma_f32_16x16x128_f8f6f4
// GFX1250: v_wmma_f32_16x16x128_f8f6f4 v[0:7], v[8:23], v[24:31], v[40:47] matrix_b_fmt:MATRIX_FMT_FP4 ; encoding: [0x00,0x40,0x33,0xcc,0x08,0x31,0xa2,0x04]
// WAVESIZE-ERR: :[[@LINE-3]]:1: error: instruction requires wavesize=32

v_wmma_f32_16x16x128_f8f6f4 v[0:7], v[8:23], v[24:35], v[40:47] matrix_a_fmt:MATRIX_FMT_BF8 matrix_b_fmt:MATRIX_FMT_FP6
// GFX12-ERR: :[[@LINE-1]]:1: error: instruction not supported on this GPU (gfx1200): v_wmma_f32_16x16x128_f8f6f4
// GFX1250: v_wmma_f32_16x16x128_f8f6f4 v[0:7], v[8:23], v[24:35], v[40:47] matrix_a_fmt:MATRIX_FMT_BF8 matrix_b_fmt:MATRIX_FMT_FP6 ; encoding: [0x00,0x08,0x33,0xcc,0x08,0x31,0xa2,0x14]
// WAVESIZE-ERR: :[[@LINE-3]]:1: error: instruction requires wavesize=32

v_wmma_f32_16x16x128_f8f6f4 v[0:7], v[8:23], v[24:39], 1.0
// GFX12-ERR: :[[@LINE-1]]:1: error: instruction not supported on this GPU (gfx1200): v_wmma_f32_16x16x128_f8f6f4
// GFX1250: v_wmma_f32_16x16x128_f8f6f4 v[0:7], v[8:23], v[24:39], 1.0 ; encoding: [0x00,0x00,0x33,0xcc,0x08,0x31,0xca,0x03]
// WAVESIZE-ERR: :[[@LINE-3]]:1: error: instruction requires wavesize=32

v_wmma_f32_16x16x128_f8f6f4 v[0:7], v[8:23], v[24:39], v[40:47] neg_lo:[0,0,1]
// GFX12-ERR: :[[@LINE-1]]:1: error: instruction not supported on this GPU (gfx1200): v_wmma_f32_16x16x128_f8f6f4
// GFX1250: v_wmma_f32_16x16x128_f8f6f4 v[0:7], v[8:23], v[24:39], v[40:47] neg_lo:[0,0,1] ; encoding: [0x00,0x00,0x33,0xcc,0x08,0x31,0xa2,0x84]
// WAVESIZE-ERR: :[[@LINE-3]]:1: error: instruction requires wavesize=32

v_wmma_f32_16x16x128_f8f6f4 v[0:7], v[8:23], v[24:39], v[40:47] neg_hi:[0,0,1]
// GFX12-ERR: :[[@LINE-1]]:1: error: instruction not supported on this GPU (gfx1200): v_wmma_f32_16x16x128_f8f6f4
// GFX1250: v_wmma_f32_16x16x128_f8f6f4 v[0:7], v[8:23], v[24:39], v[40:47] neg_hi:[0,0,1] ; encoding: [0x00,0x04,0x33,0xcc,0x08,0x31,0xa2,0x04]
// WAVESIZE-ERR: :[[@LINE-3]]:1: error: instruction requires wavesize=32

v_wmma_ld_scale_paired_b32 v1, v2
// GFX12-ERR: :[[@LINE-1]]:1: error: instruction not supported on this GPU (gfx1200): v_wmma_ld_scale_paired_b32
// GFX1250: v_wmma_ld_scale_paired_b32 v1, v2       ; encoding: [0x00,0x00,0x35,0xcc,0x01,0x05,0x02,0x02]
// WAVESIZE-ERR: :[[@LINE-3]]:1: error: instruction requires wavesize=32

v_wmma_ld_scale_paired_b32 s1, s2
// GFX12-ERR: :[[@LINE-1]]:1: error: instruction not supported on this GPU (gfx1200): v_wmma_ld_scale_paired_b32
// GFX1250: v_wmma_ld_scale_paired_b32 s1, s2       ; encoding: [0x00,0x00,0x35,0xcc,0x01,0x04,0x00,0x02]
// WAVESIZE-ERR: :[[@LINE-3]]:1: error: instruction requires wavesize=32

v_wmma_ld_scale_paired_b32 2, -4
// GFX12-ERR: :[[@LINE-1]]:1: error: instruction not supported on this GPU (gfx1200): v_wmma_ld_scale_paired_b32
// GFX1250: v_wmma_ld_scale_paired_b32 2, -4        ; encoding: [0x00,0x00,0x35,0xcc,0x82,0x88,0x01,0x02]
// WAVESIZE-ERR: :[[@LINE-3]]:1: error: instruction requires wavesize=32

v_wmma_ld_scale_paired_b32 v1, v2 matrix_a_scale:MATRIX_SCALE_ROW0 matrix_b_scale:MATRIX_SCALE_ROW0
// GFX12-ERR: :[[@LINE-1]]:1: error: instruction not supported on this GPU (gfx1200): v_wmma_ld_scale_paired_b32
// GFX1250: v_wmma_ld_scale_paired_b32 v1, v2       ; encoding: [0x00,0x00,0x35,0xcc,0x01,0x05,0x02,0x02]
// WAVESIZE-ERR: :[[@LINE-3]]:1: error: instruction requires wavesize=32

v_wmma_ld_scale_paired_b32 s0, s0 matrix_a_scale:MATRIX_SCALE_ROW1
// GFX12-ERR: :[[@LINE-1]]:1: error: instruction not supported on this GPU (gfx1200): v_wmma_ld_scale_paired_b32
// GFX1250: v_wmma_ld_scale_paired_b32 s0, s0 matrix_a_scale:MATRIX_SCALE_ROW1 ; encoding: [0x00,0x08,0x35,0xcc,0x00,0x00,0x00,0x02]
// WAVESIZE-ERR: :[[@LINE-3]]:1: error: instruction requires wavesize=32

v_wmma_ld_scale_paired_b32 s0, s0 matrix_a_reuse
// GFX12-ERR: :[[@LINE-1]]:1: error: instruction not supported on this GPU (gfx1200): v_wmma_ld_scale_paired_b32
// GFX1250: v_wmma_ld_scale_paired_b32 s0, s0 matrix_a_reuse ; encoding: [0x00,0x20,0x35,0xcc,0x00,0x00,0x00,0x02]
// WAVESIZE-ERR: :[[@LINE-3]]:1: error: instruction requires wavesize=32

v_wmma_ld_scale_paired_b32 s0, s0 matrix_a_scale:MATRIX_SCALE_ROW1 matrix_a_reuse
// GFX12-ERR: :[[@LINE-1]]:1: error: instruction not supported on this GPU (gfx1200): v_wmma_ld_scale_paired_b32
// GFX1250: v_wmma_ld_scale_paired_b32 s0, s0 matrix_a_scale:MATRIX_SCALE_ROW1 matrix_a_reuse ; encoding: [0x00,0x28,0x35,0xcc,0x00,0x00,0x00,0x02]
// WAVESIZE-ERR: :[[@LINE-3]]:1: error: instruction requires wavesize=32

v_wmma_ld_scale_paired_b32 s0, s0 matrix_b_scale:MATRIX_SCALE_ROW1
// GFX12-ERR: :[[@LINE-1]]:1: error: instruction not supported on this GPU (gfx1200): v_wmma_ld_scale_paired_b32
// GFX1250: v_wmma_ld_scale_paired_b32 s0, s0 matrix_b_scale:MATRIX_SCALE_ROW1 ; encoding: [0x00,0x00,0x35,0xcc,0x00,0x00,0x00,0x0a]
// WAVESIZE-ERR: :[[@LINE-3]]:1: error: instruction requires wavesize=32

v_wmma_ld_scale_paired_b32 s0, s0 matrix_b_reuse
// GFX12-ERR: :[[@LINE-1]]:1: error: instruction not supported on this GPU (gfx1200): v_wmma_ld_scale_paired_b32
// GFX1250: v_wmma_ld_scale_paired_b32 s0, s0 matrix_b_reuse ; encoding: [0x00,0x40,0x35,0xcc,0x00,0x00,0x00,0x02]
// WAVESIZE-ERR: :[[@LINE-3]]:1: error: instruction requires wavesize=32

v_wmma_ld_scale_paired_b32 s0, s0 matrix_b_scale:MATRIX_SCALE_ROW1 matrix_b_reuse
// GFX12-ERR: :[[@LINE-1]]:1: error: instruction not supported on this GPU (gfx1200): v_wmma_ld_scale_paired_b32
// GFX1250: v_wmma_ld_scale_paired_b32 s0, s0 matrix_b_scale:MATRIX_SCALE_ROW1 matrix_b_reuse ; encoding: [0x00,0x40,0x35,0xcc,0x00,0x00,0x00,0x0a]
// WAVESIZE-ERR: :[[@LINE-3]]:1: error: instruction requires wavesize=32

v_wmma_ld_scale_paired_b32 v1, v2 matrix_a_scale:MATRIX_SCALE_ROW0 matrix_b_scale:MATRIX_SCALE_ROW1 matrix_a_scale_fmt:MATRIX_SCALE_FMT_E8 matrix_b_scale_fmt:MATRIX_SCALE_FMT_E8
// GFX12-ERR: :[[@LINE-1]]:1: error: instruction not supported on this GPU (gfx1200): v_wmma_ld_scale_paired_b32
// GFX1250: v_wmma_ld_scale_paired_b32 v1, v2 matrix_b_scale:MATRIX_SCALE_ROW1 ; encoding: [0x00,0x00,0x35,0xcc,0x01,0x05,0x02,0x0a]
// WAVESIZE-ERR: :[[@LINE-3]]:1: error: instruction requires wavesize=32

v_wmma_ld_scale_paired_b32 v1, v2 matrix_b_scale:MATRIX_SCALE_ROW1 matrix_a_scale_fmt:MATRIX_SCALE_FMT_E5M3
// GFX12-ERR: :[[@LINE-1]]:1: error: instruction not supported on this GPU (gfx1200): v_wmma_ld_scale_paired_b32
// GFX1250: v_wmma_ld_scale_paired_b32 v1, v2 matrix_b_scale:MATRIX_SCALE_ROW1 matrix_a_scale_fmt:MATRIX_SCALE_FMT_E5M3 ; encoding: [0x00,0x00,0x35,0xcc,0x01,0x05,0x02,0x2a]
// WAVESIZE-ERR: :[[@LINE-3]]:1: error: instruction requires wavesize=32

v_wmma_ld_scale_paired_b32 v1, v2 matrix_b_scale:MATRIX_SCALE_ROW1 matrix_a_scale_fmt:MATRIX_SCALE_FMT_E4M3
// GFX12-ERR: :[[@LINE-1]]:1: error: instruction not supported on this GPU (gfx1200): v_wmma_ld_scale_paired_b32
// GFX1250: v_wmma_ld_scale_paired_b32 v1, v2 matrix_b_scale:MATRIX_SCALE_ROW1 matrix_a_scale_fmt:MATRIX_SCALE_FMT_E4M3 ; encoding: [0x00,0x00,0x35,0xcc,0x01,0x05,0x02,0x4a]
// WAVESIZE-ERR: :[[@LINE-3]]:1: error: instruction requires wavesize=32

v_wmma_ld_scale_paired_b32 v1, v2 matrix_b_scale_fmt:MATRIX_SCALE_FMT_E8
// GFX12-ERR: :[[@LINE-1]]:1: error: instruction not supported on this GPU (gfx1200): v_wmma_ld_scale_paired_b32
// GFX1250: v_wmma_ld_scale_paired_b32 v1, v2       ; encoding: [0x00,0x00,0x35,0xcc,0x01,0x05,0x02,0x02]
// WAVESIZE-ERR: :[[@LINE-3]]:1: error: instruction requires wavesize=32

v_wmma_ld_scale_paired_b32 v1, v2 matrix_b_scale_fmt:MATRIX_SCALE_FMT_E5M3
// GFX12-ERR: :[[@LINE-1]]:1: error: instruction not supported on this GPU (gfx1200): v_wmma_ld_scale_paired_b32
// GFX1250: v_wmma_ld_scale_paired_b32 v1, v2 matrix_b_scale_fmt:MATRIX_SCALE_FMT_E5M3 ; encoding: [0x00,0x01,0x35,0xcc,0x01,0x05,0x02,0x02]
// WAVESIZE-ERR: :[[@LINE-3]]:1: error: instruction requires wavesize=32

v_wmma_ld_scale_paired_b32 v1, v2 matrix_b_scale_fmt:MATRIX_SCALE_FMT_E4M3
// GFX12-ERR: :[[@LINE-1]]:1: error: instruction not supported on this GPU (gfx1200): v_wmma_ld_scale_paired_b32
// GFX1250: v_wmma_ld_scale_paired_b32 v1, v2 matrix_b_scale_fmt:MATRIX_SCALE_FMT_E4M3 ; encoding: [0x00,0x02,0x35,0xcc,0x01,0x05,0x02,0x02]
// WAVESIZE-ERR: :[[@LINE-3]]:1: error: instruction requires wavesize=32

v_wmma_ld_scale_paired_b32 v1, v2 matrix_a_scale:MATRIX_SCALE_ROW1 matrix_b_scale:MATRIX_SCALE_ROW1 matrix_a_scale_fmt:MATRIX_SCALE_FMT_E5M3 matrix_b_scale_fmt:MATRIX_SCALE_FMT_E4M3 matrix_a_reuse matrix_b_reuse
// GFX12-ERR: :[[@LINE-1]]:1: error: instruction not supported on this GPU (gfx1200): v_wmma_ld_scale_paired_b32
// GFX1250: v_wmma_ld_scale_paired_b32 v1, v2 matrix_a_scale:MATRIX_SCALE_ROW1 matrix_b_scale:MATRIX_SCALE_ROW1 matrix_a_scale_fmt:MATRIX_SCALE_FMT_E5M3 matrix_b_scale_fmt:MATRIX_SCALE_FMT_E4M3 matrix_a_reuse matrix_b_reuse ; encoding: [0x00,0x6a,0x35,0xcc,0x01,0x05,0x02,0x2a]
// WAVESIZE-ERR: :[[@LINE-3]]:1: error: instruction requires wavesize=32

v_wmma_ld_scale16_paired_b64 v[2:3], v[4:5]
// GFX12-ERR: :[[@LINE-1]]:1: error: instruction not supported on this GPU (gfx1200): v_wmma_ld_scale16_paired_b64
// GFX1250: v_wmma_ld_scale16_paired_b64 v[2:3], v[4:5] ; encoding: [0x00,0x00,0x3a,0xcc,0x02,0x09,0x02,0x02]
// WAVESIZE-ERR: :[[@LINE-3]]:1: error: instruction requires wavesize=32

v_wmma_ld_scale16_paired_b64 s[2:3], s[4:5]
// GFX12-ERR: :[[@LINE-1]]:1: error: instruction not supported on this GPU (gfx1200): v_wmma_ld_scale16_paired_b64
// GFX1250: v_wmma_ld_scale16_paired_b64 s[2:3], s[4:5] ; encoding: [0x00,0x00,0x3a,0xcc,0x02,0x08,0x00,0x02]
// WAVESIZE-ERR: :[[@LINE-3]]:1: error: instruction requires wavesize=32

v_wmma_ld_scale16_paired_b64 2, -4
// GFX12-ERR: :[[@LINE-1]]:1: error: instruction not supported on this GPU (gfx1200): v_wmma_ld_scale16_paired_b64
// GFX1250: v_wmma_ld_scale16_paired_b64 2, -4      ; encoding: [0x00,0x00,0x3a,0xcc,0x82,0x88,0x01,0x02]
// WAVESIZE-ERR: :[[@LINE-3]]:1: error: instruction requires wavesize=32

v_wmma_ld_scale16_paired_b64 v[2:3], v[4:5] matrix_a_scale:MATRIX_SCALE_ROW0 matrix_b_scale:MATRIX_SCALE_ROW0
// GFX12-ERR: :[[@LINE-1]]:1: error: instruction not supported on this GPU (gfx1200): v_wmma_ld_scale16_paired_b64
// GFX1250: v_wmma_ld_scale16_paired_b64 v[2:3], v[4:5] ; encoding: [0x00,0x00,0x3a,0xcc,0x02,0x09,0x02,0x02]
// WAVESIZE-ERR: :[[@LINE-3]]:1: error: instruction requires wavesize=32

v_wmma_ld_scale16_paired_b64 s[0:1], s[0:1] matrix_a_scale:MATRIX_SCALE_ROW1
// GFX12-ERR: :[[@LINE-1]]:1: error: instruction not supported on this GPU (gfx1200): v_wmma_ld_scale16_paired_b64
// GFX1250: v_wmma_ld_scale16_paired_b64 s[0:1], s[0:1] matrix_a_scale:MATRIX_SCALE_ROW1 ; encoding: [0x00,0x08,0x3a,0xcc,0x00,0x00,0x00,0x02]
// WAVESIZE-ERR: :[[@LINE-3]]:1: error: instruction requires wavesize=32

v_wmma_ld_scale16_paired_b64 s[0:1], s[0:1] matrix_a_reuse
// GFX12-ERR: :[[@LINE-1]]:1: error: instruction not supported on this GPU (gfx1200): v_wmma_ld_scale16_paired_b64
// GFX1250: v_wmma_ld_scale16_paired_b64 s[0:1], s[0:1] matrix_a_reuse ; encoding: [0x00,0x20,0x3a,0xcc,0x00,0x00,0x00,0x02]
// WAVESIZE-ERR: :[[@LINE-3]]:1: error: instruction requires wavesize=32

v_wmma_ld_scale16_paired_b64 s[0:1], s[0:1] matrix_a_scale:MATRIX_SCALE_ROW1 matrix_a_reuse
// GFX12-ERR: :[[@LINE-1]]:1: error: instruction not supported on this GPU (gfx1200): v_wmma_ld_scale16_paired_b64
// GFX1250: v_wmma_ld_scale16_paired_b64 s[0:1], s[0:1] matrix_a_scale:MATRIX_SCALE_ROW1 matrix_a_reuse ; encoding: [0x00,0x28,0x3a,0xcc,0x00,0x00,0x00,0x02]
// WAVESIZE-ERR: :[[@LINE-3]]:1: error: instruction requires wavesize=32

v_wmma_ld_scale16_paired_b64 s[0:1], s[0:1] matrix_b_scale:MATRIX_SCALE_ROW1
// GFX12-ERR: :[[@LINE-1]]:1: error: instruction not supported on this GPU (gfx1200): v_wmma_ld_scale16_paired_b64
// GFX1250: v_wmma_ld_scale16_paired_b64 s[0:1], s[0:1] matrix_b_scale:MATRIX_SCALE_ROW1 ; encoding: [0x00,0x00,0x3a,0xcc,0x00,0x00,0x00,0x0a]
// WAVESIZE-ERR: :[[@LINE-3]]:1: error: instruction requires wavesize=32

v_wmma_ld_scale16_paired_b64 s[0:1], s[0:1] matrix_b_reuse
// GFX12-ERR: :[[@LINE-1]]:1: error: instruction not supported on this GPU (gfx1200): v_wmma_ld_scale16_paired_b64
// GFX1250: v_wmma_ld_scale16_paired_b64 s[0:1], s[0:1] matrix_b_reuse ; encoding: [0x00,0x40,0x3a,0xcc,0x00,0x00,0x00,0x02]
// WAVESIZE-ERR: :[[@LINE-3]]:1: error: instruction requires wavesize=32

v_wmma_ld_scale16_paired_b64 s[0:1], s[0:1] matrix_b_scale:MATRIX_SCALE_ROW1 matrix_b_reuse
// GFX12-ERR: :[[@LINE-1]]:1: error: instruction not supported on this GPU (gfx1200): v_wmma_ld_scale16_paired_b64
// GFX1250: v_wmma_ld_scale16_paired_b64 s[0:1], s[0:1] matrix_b_scale:MATRIX_SCALE_ROW1 matrix_b_reuse ; encoding: [0x00,0x40,0x3a,0xcc,0x00,0x00,0x00,0x0a]
// WAVESIZE-ERR: :[[@LINE-3]]:1: error: instruction requires wavesize=32

v_wmma_ld_scale16_paired_b64 v[2:3], v[4:5] matrix_a_scale:MATRIX_SCALE_ROW0 matrix_b_scale:MATRIX_SCALE_ROW1 matrix_a_scale_fmt:MATRIX_SCALE_FMT_E8 matrix_b_scale_fmt:MATRIX_SCALE_FMT_E8
// GFX12-ERR: :[[@LINE-1]]:1: error: instruction not supported on this GPU (gfx1200): v_wmma_ld_scale16_paired_b64
// GFX1250: v_wmma_ld_scale16_paired_b64 v[2:3], v[4:5] matrix_b_scale:MATRIX_SCALE_ROW1 ; encoding: [0x00,0x00,0x3a,0xcc,0x02,0x09,0x02,0x0a]
// WAVESIZE-ERR: :[[@LINE-3]]:1: error: instruction requires wavesize=32

v_wmma_ld_scale16_paired_b64 v[2:3], v[4:5] matrix_b_scale:MATRIX_SCALE_ROW1 matrix_a_scale_fmt:MATRIX_SCALE_FMT_E5M3
// GFX12-ERR: :[[@LINE-1]]:1: error: instruction not supported on this GPU (gfx1200): v_wmma_ld_scale16_paired_b64
// GFX1250: v_wmma_ld_scale16_paired_b64 v[2:3], v[4:5] matrix_b_scale:MATRIX_SCALE_ROW1 matrix_a_scale_fmt:MATRIX_SCALE_FMT_E5M3 ; encoding: [0x00,0x00,0x3a,0xcc,0x02,0x09,0x02,0x2a]
// WAVESIZE-ERR: :[[@LINE-3]]:1: error: instruction requires wavesize=32

v_wmma_ld_scale16_paired_b64 v[2:3], v[4:5] matrix_b_scale:MATRIX_SCALE_ROW1 matrix_a_scale_fmt:MATRIX_SCALE_FMT_E4M3
// GFX12-ERR: :[[@LINE-1]]:1: error: instruction not supported on this GPU (gfx1200): v_wmma_ld_scale16_paired_b64
// GFX1250: v_wmma_ld_scale16_paired_b64 v[2:3], v[4:5] matrix_b_scale:MATRIX_SCALE_ROW1 matrix_a_scale_fmt:MATRIX_SCALE_FMT_E4M3 ; encoding: [0x00,0x00,0x3a,0xcc,0x02,0x09,0x02,0x4a]
// WAVESIZE-ERR: :[[@LINE-3]]:1: error: instruction requires wavesize=32

v_wmma_ld_scale16_paired_b64 v[2:3], v[4:5] matrix_b_scale_fmt:MATRIX_SCALE_FMT_E8
// GFX12-ERR: :[[@LINE-1]]:1: error: instruction not supported on this GPU (gfx1200): v_wmma_ld_scale16_paired_b64
// GFX1250: v_wmma_ld_scale16_paired_b64 v[2:3], v[4:5] ; encoding: [0x00,0x00,0x3a,0xcc,0x02,0x09,0x02,0x02]
// WAVESIZE-ERR: :[[@LINE-3]]:1: error: instruction requires wavesize=32

v_wmma_ld_scale16_paired_b64 v[2:3], v[4:5] matrix_b_scale_fmt:MATRIX_SCALE_FMT_E5M3
// GFX12-ERR: :[[@LINE-1]]:1: error: instruction not supported on this GPU (gfx1200): v_wmma_ld_scale16_paired_b64
// GFX1250: v_wmma_ld_scale16_paired_b64 v[2:3], v[4:5] matrix_b_scale_fmt:MATRIX_SCALE_FMT_E5M3 ; encoding: [0x00,0x01,0x3a,0xcc,0x02,0x09,0x02,0x02]
// WAVESIZE-ERR: :[[@LINE-3]]:1: error: instruction requires wavesize=32

v_wmma_ld_scale16_paired_b64 v[2:3], v[4:5] matrix_b_scale_fmt:MATRIX_SCALE_FMT_E4M3
// GFX12-ERR: :[[@LINE-1]]:1: error: instruction not supported on this GPU (gfx1200): v_wmma_ld_scale16_paired_b64
// GFX1250: v_wmma_ld_scale16_paired_b64 v[2:3], v[4:5] matrix_b_scale_fmt:MATRIX_SCALE_FMT_E4M3 ; encoding: [0x00,0x02,0x3a,0xcc,0x02,0x09,0x02,0x02]
// WAVESIZE-ERR: :[[@LINE-3]]:1: error: instruction requires wavesize=32

v_wmma_ld_scale16_paired_b64 v[2:3], v[4:5] matrix_a_scale:MATRIX_SCALE_ROW1 matrix_b_scale:MATRIX_SCALE_ROW1 matrix_a_scale_fmt:MATRIX_SCALE_FMT_E5M3 matrix_b_scale_fmt:MATRIX_SCALE_FMT_E4M3 matrix_a_reuse matrix_b_reuse
// GFX12-ERR: :[[@LINE-1]]:1: error: instruction not supported on this GPU (gfx1200): v_wmma_ld_scale16_paired_b64
// GFX1250: v_wmma_ld_scale16_paired_b64 v[2:3], v[4:5] matrix_a_scale:MATRIX_SCALE_ROW1 matrix_b_scale:MATRIX_SCALE_ROW1 matrix_a_scale_fmt:MATRIX_SCALE_FMT_E5M3 matrix_b_scale_fmt:MATRIX_SCALE_FMT_E4M3 matrix_a_reuse matrix_b_reuse ; encoding: [0x00,0x6a,0x3a,0xcc,0x02,0x09,0x02,0x2a]
// WAVESIZE-ERR: :[[@LINE-3]]:1: error: instruction requires wavesize=32

v_wmma_scale_f32_16x16x128_f8f6f4 v[0:7], v[8:23], v[24:35], v[40:47], v1, v2 matrix_a_fmt:MATRIX_FMT_BF8 matrix_b_fmt:MATRIX_FMT_FP6 matrix_a_scale:MATRIX_SCALE_ROW1 matrix_b_scale:MATRIX_SCALE_ROW1 neg_lo:[0,0,1] neg_hi:[0,0,1]
// GFX12-ERR: :[[@LINE-1]]:1: error: instruction not supported on this GPU (gfx1200): v_wmma_scale_f32_16x16x128_f8f6f4
// GFX1250: v_wmma_scale_f32_16x16x128_f8f6f4 v[0:7], v[8:23], v[24:35], v[40:47], v1, v2 matrix_a_fmt:MATRIX_FMT_BF8 matrix_b_fmt:MATRIX_FMT_FP6 matrix_a_scale:MATRIX_SCALE_ROW1 matrix_b_scale:MATRIX_SCALE_ROW1 neg_lo:[0,0,1] neg_hi:[0,0,1] ; encoding: [0x00,0x08,0x35,0xcc,0x01,0x05,0x02,0x0a,0x00,0x0c,0x33,0xcc,0x08,0x31,0xa2,0x94]
// WAVESIZE-ERR: :[[@LINE-3]]:1: error: instruction requires wavesize=32

v_wmma_scale_f32_16x16x128_f8f6f4 v[0:7], v[8:23], v[24:35], v[40:47], s1, s2 matrix_a_fmt:MATRIX_FMT_BF8 matrix_b_fmt:MATRIX_FMT_FP6 matrix_a_scale:MATRIX_SCALE_ROW1 matrix_b_scale:MATRIX_SCALE_ROW1 matrix_a_reuse matrix_b_reuse neg_lo:[0,0,1] neg_hi:[0,0,1]
// GFX12-ERR: :[[@LINE-1]]:1: error: instruction not supported on this GPU (gfx1200): v_wmma_scale_f32_16x16x128_f8f6f4
// GFX1250: v_wmma_scale_f32_16x16x128_f8f6f4 v[0:7], v[8:23], v[24:35], v[40:47], s1, s2 matrix_a_fmt:MATRIX_FMT_BF8 matrix_b_fmt:MATRIX_FMT_FP6 matrix_a_scale:MATRIX_SCALE_ROW1 matrix_b_scale:MATRIX_SCALE_ROW1 matrix_a_reuse matrix_b_reuse neg_lo:[0,0,1] neg_hi:[0,0,1] ; encoding: [0x00,0x68,0x35,0xcc,0x01,0x04,0x00,0x0a,0x00,0x0c,0x33,0xcc,0x08,0x31,0xa2,0x94]
// WAVESIZE-ERR: :[[@LINE-3]]:1: error: instruction requires wavesize=32

v_wmma_scale_f32_16x16x128_f8f6f4 v[0:7], v[0:15], v[0:15], v[0:7], s0, s0
// GFX12-ERR: :[[@LINE-1]]:1: error: instruction not supported on this GPU (gfx1200): v_wmma_scale_f32_16x16x128_f8f6f4
// GFX1250: v_wmma_scale_f32_16x16x128_f8f6f4 v[0:7], v[0:15], v[0:15], v[0:7], s0, s0 ; encoding: [0x00,0x00,0x35,0xcc,0x00,0x00,0x00,0x02,0x00,0x00,0x33,0xcc,0x00,0x01,0x02,0x04]
// WAVESIZE-ERR: :[[@LINE-3]]:1: error: instruction requires wavesize=32

v_wmma_scale_f32_16x16x128_f8f6f4 v[0:7], v[0:15], v[0:15], v[0:7], s0, s0 matrix_a_fmt:MATRIX_FMT_FP8
// GFX12-ERR: :[[@LINE-1]]:1: error: instruction not supported on this GPU (gfx1200): v_wmma_scale_f32_16x16x128_f8f6f4
// GFX1250: v_wmma_scale_f32_16x16x128_f8f6f4 v[0:7], v[0:15], v[0:15], v[0:7], s0, s0 ; encoding: [0x00,0x00,0x35,0xcc,0x00,0x00,0x00,0x02,0x00,0x00,0x33,0xcc,0x00,0x01,0x02,0x04]
// WAVESIZE-ERR: :[[@LINE-3]]:1: error: instruction requires wavesize=32

v_wmma_scale_f32_16x16x128_f8f6f4 v[0:7], v[0:15], v[0:15], v[0:7], s0, s0 matrix_a_fmt:MATRIX_FMT_BF8
// GFX12-ERR: :[[@LINE-1]]:1: error: instruction not supported on this GPU (gfx1200): v_wmma_scale_f32_16x16x128_f8f6f4
// GFX1250: v_wmma_scale_f32_16x16x128_f8f6f4 v[0:7], v[0:15], v[0:15], v[0:7], s0, s0 matrix_a_fmt:MATRIX_FMT_BF8 ; encoding: [0x00,0x00,0x35,0xcc,0x00,0x00,0x00,0x02,0x00,0x08,0x33,0xcc,0x00,0x01,0x02,0x04]
// WAVESIZE-ERR: :[[@LINE-3]]:1: error: instruction requires wavesize=32

v_wmma_scale_f32_16x16x128_f8f6f4 v[0:7], v[0:11], v[0:15], v[0:7], s0, s0 matrix_a_fmt:MATRIX_FMT_FP6
// GFX12-ERR: :[[@LINE-1]]:1: error: instruction not supported on this GPU (gfx1200): v_wmma_scale_f32_16x16x128_f8f6f4
// GFX1250: v_wmma_scale_f32_16x16x128_f8f6f4 v[0:7], v[0:11], v[0:15], v[0:7], s0, s0 matrix_a_fmt:MATRIX_FMT_FP6 ; encoding: [0x00,0x00,0x35,0xcc,0x00,0x00,0x00,0x02,0x00,0x10,0x33,0xcc,0x00,0x01,0x02,0x04]
// WAVESIZE-ERR: :[[@LINE-3]]:1: error: instruction requires wavesize=32

v_wmma_scale_f32_16x16x128_f8f6f4 v[0:7], v[0:11], v[0:15], v[0:7], s0, s0 matrix_a_fmt:MATRIX_FMT_BF6
// GFX12-ERR: :[[@LINE-1]]:1: error: instruction not supported on this GPU (gfx1200): v_wmma_scale_f32_16x16x128_f8f6f4
// GFX1250: v_wmma_scale_f32_16x16x128_f8f6f4 v[0:7], v[0:11], v[0:15], v[0:7], s0, s0 matrix_a_fmt:MATRIX_FMT_BF6 ; encoding: [0x00,0x00,0x35,0xcc,0x00,0x00,0x00,0x02,0x00,0x18,0x33,0xcc,0x00,0x01,0x02,0x04]
// WAVESIZE-ERR: :[[@LINE-3]]:1: error: instruction requires wavesize=32

v_wmma_scale_f32_16x16x128_f8f6f4 v[0:7], v[0:7], v[0:15], v[0:7], s0, s0 matrix_a_fmt:MATRIX_FMT_FP4
// GFX12-ERR: :[[@LINE-1]]:1: error: instruction not supported on this GPU (gfx1200): v_wmma_scale_f32_16x16x128_f8f6f4
// GFX1250: v_wmma_scale_f32_16x16x128_f8f6f4 v[0:7], v[0:7], v[0:15], v[0:7], s0, s0 matrix_a_fmt:MATRIX_FMT_FP4 ; encoding: [0x00,0x00,0x35,0xcc,0x00,0x00,0x00,0x02,0x00,0x20,0x33,0xcc,0x00,0x01,0x02,0x04]
// WAVESIZE-ERR: :[[@LINE-3]]:1: error: instruction requires wavesize=32

v_wmma_scale_f32_16x16x128_f8f6f4 v[0:7], v[0:15], v[0:15], v[0:7], s0, s0 matrix_b_fmt:MATRIX_FMT_FP8
// GFX12-ERR: :[[@LINE-1]]:1: error: instruction not supported on this GPU (gfx1200): v_wmma_scale_f32_16x16x128_f8f6f4
// GFX1250: v_wmma_scale_f32_16x16x128_f8f6f4 v[0:7], v[0:15], v[0:15], v[0:7], s0, s0 ; encoding: [0x00,0x00,0x35,0xcc,0x00,0x00,0x00,0x02,0x00,0x00,0x33,0xcc,0x00,0x01,0x02,0x04]
// WAVESIZE-ERR: :[[@LINE-3]]:1: error: instruction requires wavesize=32

v_wmma_scale_f32_16x16x128_f8f6f4 v[0:7], v[0:15], v[0:15], v[0:7], s0, s0 matrix_b_fmt:MATRIX_FMT_BF8
// GFX12-ERR: :[[@LINE-1]]:1: error: instruction not supported on this GPU (gfx1200): v_wmma_scale_f32_16x16x128_f8f6f4
// GFX1250: v_wmma_scale_f32_16x16x128_f8f6f4 v[0:7], v[0:15], v[0:15], v[0:7], s0, s0 matrix_b_fmt:MATRIX_FMT_BF8 ; encoding: [0x00,0x00,0x35,0xcc,0x00,0x00,0x00,0x02,0x00,0x00,0x33,0xcc,0x00,0x01,0x02,0x0c]
// WAVESIZE-ERR: :[[@LINE-3]]:1: error: instruction requires wavesize=32

v_wmma_scale_f32_16x16x128_f8f6f4 v[0:7], v[0:15], v[0:11], v[0:7], s0, s0 matrix_b_fmt:MATRIX_FMT_FP6
// GFX12-ERR: :[[@LINE-1]]:1: error: instruction not supported on this GPU (gfx1200): v_wmma_scale_f32_16x16x128_f8f6f4
// GFX1250: v_wmma_scale_f32_16x16x128_f8f6f4 v[0:7], v[0:15], v[0:11], v[0:7], s0, s0 matrix_b_fmt:MATRIX_FMT_FP6 ; encoding: [0x00,0x00,0x35,0xcc,0x00,0x00,0x00,0x02,0x00,0x00,0x33,0xcc,0x00,0x01,0x02,0x14]
// WAVESIZE-ERR: :[[@LINE-3]]:1: error: instruction requires wavesize=32

v_wmma_scale_f32_16x16x128_f8f6f4 v[0:7], v[0:15], v[0:11], v[0:7], s0, s0 matrix_b_fmt:MATRIX_FMT_BF6
// GFX12-ERR: :[[@LINE-1]]:1: error: instruction not supported on this GPU (gfx1200): v_wmma_scale_f32_16x16x128_f8f6f4
// GFX1250: v_wmma_scale_f32_16x16x128_f8f6f4 v[0:7], v[0:15], v[0:11], v[0:7], s0, s0 matrix_b_fmt:MATRIX_FMT_BF6 ; encoding: [0x00,0x00,0x35,0xcc,0x00,0x00,0x00,0x02,0x00,0x00,0x33,0xcc,0x00,0x01,0x02,0x1c]
// WAVESIZE-ERR: :[[@LINE-3]]:1: error: instruction requires wavesize=32

v_wmma_scale_f32_16x16x128_f8f6f4 v[0:7], v[0:15], v[0:7], v[0:7], s0, s0 matrix_b_fmt:MATRIX_FMT_FP4
// GFX12-ERR: :[[@LINE-1]]:1: error: instruction not supported on this GPU (gfx1200): v_wmma_scale_f32_16x16x128_f8f6f4
// GFX1250: v_wmma_scale_f32_16x16x128_f8f6f4 v[0:7], v[0:15], v[0:7], v[0:7], s0, s0 matrix_b_fmt:MATRIX_FMT_FP4 ; encoding: [0x00,0x00,0x35,0xcc,0x00,0x00,0x00,0x02,0x00,0x40,0x33,0xcc,0x00,0x01,0x02,0x04]
// WAVESIZE-ERR: :[[@LINE-3]]:1: error: instruction requires wavesize=32

v_wmma_scale_f32_16x16x128_f8f6f4 v[0:7], v[0:15], v[0:15], v[0:7], s0, s0 matrix_a_scale:MATRIX_SCALE_ROW0
// GFX12-ERR: :[[@LINE-1]]:1: error: instruction not supported on this GPU (gfx1200): v_wmma_scale_f32_16x16x128_f8f6f4
// GFX1250: v_wmma_scale_f32_16x16x128_f8f6f4 v[0:7], v[0:15], v[0:15], v[0:7], s0, s0 ; encoding: [0x00,0x00,0x35,0xcc,0x00,0x00,0x00,0x02,0x00,0x00,0x33,0xcc,0x00,0x01,0x02,0x04]
// WAVESIZE-ERR: :[[@LINE-3]]:1: error: instruction requires wavesize=32

v_wmma_scale_f32_16x16x128_f8f6f4 v[0:7], v[0:15], v[0:15], v[0:7], s0, s0 matrix_a_scale:MATRIX_SCALE_ROW1
// GFX12-ERR: :[[@LINE-1]]:1: error: instruction not supported on this GPU (gfx1200): v_wmma_scale_f32_16x16x128_f8f6f4
// GFX1250: v_wmma_scale_f32_16x16x128_f8f6f4 v[0:7], v[0:15], v[0:15], v[0:7], s0, s0 matrix_a_scale:MATRIX_SCALE_ROW1 ; encoding: [0x00,0x08,0x35,0xcc,0x00,0x00,0x00,0x02,0x00,0x00,0x33,0xcc,0x00,0x01,0x02,0x04]
// WAVESIZE-ERR: :[[@LINE-3]]:1: error: instruction requires wavesize=32

v_wmma_scale_f32_16x16x128_f8f6f4 v[0:7], v[0:15], v[0:15], v[0:7], s0, s0 matrix_a_reuse
// GFX12-ERR: :[[@LINE-1]]:1: error: instruction not supported on this GPU (gfx1200): v_wmma_scale_f32_16x16x128_f8f6f4
// GFX1250: v_wmma_scale_f32_16x16x128_f8f6f4 v[0:7], v[0:15], v[0:15], v[0:7], s0, s0 matrix_a_reuse ; encoding: [0x00,0x20,0x35,0xcc,0x00,0x00,0x00,0x02,0x00,0x00,0x33,0xcc,0x00,0x01,0x02,0x04]
// WAVESIZE-ERR: :[[@LINE-3]]:1: error: instruction requires wavesize=32

v_wmma_scale_f32_16x16x128_f8f6f4 v[0:7], v[0:15], v[0:15], v[0:7], s0, s0 matrix_a_scale:MATRIX_SCALE_ROW1 matrix_a_reuse
// GFX12-ERR: :[[@LINE-1]]:1: error: instruction not supported on this GPU (gfx1200): v_wmma_scale_f32_16x16x128_f8f6f4
// GFX1250: v_wmma_scale_f32_16x16x128_f8f6f4 v[0:7], v[0:15], v[0:15], v[0:7], s0, s0 matrix_a_scale:MATRIX_SCALE_ROW1 matrix_a_reuse ; encoding: [0x00,0x28,0x35,0xcc,0x00,0x00,0x00,0x02,0x00,0x00,0x33,0xcc,0x00,0x01,0x02,0x04]
// WAVESIZE-ERR: :[[@LINE-3]]:1: error: instruction requires wavesize=32

v_wmma_scale_f32_16x16x128_f8f6f4 v[0:7], v[0:15], v[0:15], v[0:7], s0, s0 matrix_b_scale:MATRIX_SCALE_ROW0
// GFX12-ERR: :[[@LINE-1]]:1: error: instruction not supported on this GPU (gfx1200): v_wmma_scale_f32_16x16x128_f8f6f4
// GFX1250: v_wmma_scale_f32_16x16x128_f8f6f4 v[0:7], v[0:15], v[0:15], v[0:7], s0, s0 ; encoding: [0x00,0x00,0x35,0xcc,0x00,0x00,0x00,0x02,0x00,0x00,0x33,0xcc,0x00,0x01,0x02,0x04]
// WAVESIZE-ERR: :[[@LINE-3]]:1: error: instruction requires wavesize=32

v_wmma_scale_f32_16x16x128_f8f6f4 v[0:7], v[0:15], v[0:15], v[0:7], s0, s0 matrix_b_scale:MATRIX_SCALE_ROW1
// GFX12-ERR: :[[@LINE-1]]:1: error: instruction not supported on this GPU (gfx1200): v_wmma_scale_f32_16x16x128_f8f6f4
// GFX1250: v_wmma_scale_f32_16x16x128_f8f6f4 v[0:7], v[0:15], v[0:15], v[0:7], s0, s0 matrix_b_scale:MATRIX_SCALE_ROW1 ; encoding: [0x00,0x00,0x35,0xcc,0x00,0x00,0x00,0x0a,0x00,0x00,0x33,0xcc,0x00,0x01,0x02,0x04]
// WAVESIZE-ERR: :[[@LINE-3]]:1: error: instruction requires wavesize=32

v_wmma_scale_f32_16x16x128_f8f6f4 v[0:7], v[0:15], v[0:15], v[0:7], s0, s0 matrix_b_reuse
// GFX12-ERR: :[[@LINE-1]]:1: error: instruction not supported on this GPU (gfx1200): v_wmma_scale_f32_16x16x128_f8f6f4
// GFX1250: v_wmma_scale_f32_16x16x128_f8f6f4 v[0:7], v[0:15], v[0:15], v[0:7], s0, s0 matrix_b_reuse ; encoding: [0x00,0x40,0x35,0xcc,0x00,0x00,0x00,0x02,0x00,0x00,0x33,0xcc,0x00,0x01,0x02,0x04]
// WAVESIZE-ERR: :[[@LINE-3]]:1: error: instruction requires wavesize=32

v_wmma_scale_f32_16x16x128_f8f6f4 v[0:7], v[0:15], v[0:15], v[0:7], s0, s0 matrix_b_scale:MATRIX_SCALE_ROW1 matrix_b_reuse
// GFX12-ERR: :[[@LINE-1]]:1: error: instruction not supported on this GPU (gfx1200): v_wmma_scale_f32_16x16x128_f8f6f4
// GFX1250: v_wmma_scale_f32_16x16x128_f8f6f4 v[0:7], v[0:15], v[0:15], v[0:7], s0, s0 matrix_b_scale:MATRIX_SCALE_ROW1 matrix_b_reuse ; encoding: [0x00,0x40,0x35,0xcc,0x00,0x00,0x00,0x0a,0x00,0x00,0x33,0xcc,0x00,0x01,0x02,0x04]
// WAVESIZE-ERR: :[[@LINE-3]]:1: error: instruction requires wavesize=32

v_wmma_scale_f32_16x16x128_f8f6f4 v[0:7], v[8:23], v[24:39], v[40:47], v1, v2 matrix_a_scale_fmt:MATRIX_SCALE_FMT_E8 matrix_b_scale_fmt:MATRIX_SCALE_FMT_E8
// GFX12-ERR: :[[@LINE-1]]:1: error: instruction not supported on this GPU (gfx1200): v_wmma_scale_f32_16x16x128_f8f6f4
// GFX1250: v_wmma_scale_f32_16x16x128_f8f6f4 v[0:7], v[8:23], v[24:39], v[40:47], v1, v2 ; encoding: [0x00,0x00,0x35,0xcc,0x01,0x05,0x02,0x02,0x00,0x00,0x33,0xcc,0x08,0x31,0xa2,0x04]
// WAVESIZE-ERR: :[[@LINE-3]]:1: error: instruction requires wavesize=32

v_wmma_scale_f32_16x16x128_f8f6f4 v[0:7], v[8:15], v[24:39], v[40:47], v1, v2 matrix_a_fmt:MATRIX_FMT_FP4 matrix_a_scale_fmt:MATRIX_SCALE_FMT_E5M3
// GFX12-ERR: :[[@LINE-1]]:1: error: instruction not supported on this GPU (gfx1200): v_wmma_scale_f32_16x16x128_f8f6f4
// GFX1250: v_wmma_scale_f32_16x16x128_f8f6f4 v[0:7], v[8:15], v[24:39], v[40:47], v1, v2 matrix_a_fmt:MATRIX_FMT_FP4 matrix_a_scale_fmt:MATRIX_SCALE_FMT_E5M3 ; encoding: [0x00,0x00,0x35,0xcc,0x01,0x05,0x02,0x22,0x00,0x20,0x33,0xcc,0x08,0x31,0xa2,0x04]
// WAVESIZE-ERR: :[[@LINE-3]]:1: error: instruction requires wavesize=32

v_wmma_scale_f32_16x16x128_f8f6f4 v[0:7], v[8:15], v[24:39], v[40:47], v1, v2 matrix_a_fmt:MATRIX_FMT_FP4 matrix_a_scale_fmt:MATRIX_SCALE_FMT_E4M3
// GFX12-ERR: :[[@LINE-1]]:1: error: instruction not supported on this GPU (gfx1200): v_wmma_scale_f32_16x16x128_f8f6f4
// GFX1250: v_wmma_scale_f32_16x16x128_f8f6f4 v[0:7], v[8:15], v[24:39], v[40:47], v1, v2 matrix_a_fmt:MATRIX_FMT_FP4 matrix_a_scale_fmt:MATRIX_SCALE_FMT_E4M3 ; encoding: [0x00,0x00,0x35,0xcc,0x01,0x05,0x02,0x42,0x00,0x20,0x33,0xcc,0x08,0x31,0xa2,0x04]
// WAVESIZE-ERR: :[[@LINE-3]]:1: error: instruction requires wavesize=32

v_wmma_scale_f32_16x16x128_f8f6f4 v[0:7], v[8:23], v[24:31], v[40:47], v1, v2 matrix_b_fmt:MATRIX_FMT_FP4 matrix_b_scale_fmt:MATRIX_SCALE_FMT_E5M3
// GFX12-ERR: :[[@LINE-1]]:1: error: instruction not supported on this GPU (gfx1200): v_wmma_scale_f32_16x16x128_f8f6f4
// GFX1250: v_wmma_scale_f32_16x16x128_f8f6f4 v[0:7], v[8:23], v[24:31], v[40:47], v1, v2 matrix_b_fmt:MATRIX_FMT_FP4 matrix_b_scale_fmt:MATRIX_SCALE_FMT_E5M3 ; encoding: [0x00,0x01,0x35,0xcc,0x01,0x05,0x02,0x02,0x00,0x40,0x33,0xcc,0x08,0x31,0xa2,0x04]
// WAVESIZE-ERR: :[[@LINE-3]]:1: error: instruction requires wavesize=32

v_wmma_scale_f32_16x16x128_f8f6f4 v[0:7], v[8:23], v[24:31], v[40:47], v1, v2 matrix_b_fmt:MATRIX_FMT_FP4 matrix_b_scale_fmt:MATRIX_SCALE_FMT_E4M3
// GFX12-ERR: :[[@LINE-1]]:1: error: instruction not supported on this GPU (gfx1200): v_wmma_scale_f32_16x16x128_f8f6f4
// GFX1250: v_wmma_scale_f32_16x16x128_f8f6f4 v[0:7], v[8:23], v[24:31], v[40:47], v1, v2 matrix_b_fmt:MATRIX_FMT_FP4 matrix_b_scale_fmt:MATRIX_SCALE_FMT_E4M3 ; encoding: [0x00,0x02,0x35,0xcc,0x01,0x05,0x02,0x02,0x00,0x40,0x33,0xcc,0x08,0x31,0xa2,0x04]
// WAVESIZE-ERR: :[[@LINE-3]]:1: error: instruction requires wavesize=32

v_wmma_scale_f32_16x16x128_f8f6f4 v[0:7], v[8:23], v[24:35], v[40:47], v1, v2 matrix_a_fmt:MATRIX_FMT_BF8 matrix_b_fmt:MATRIX_FMT_FP6 matrix_a_scale:MATRIX_SCALE_ROW1 matrix_b_scale:MATRIX_SCALE_ROW1 matrix_a_scale_fmt:MATRIX_SCALE_FMT_E8 matrix_b_scale_fmt:MATRIX_SCALE_FMT_E8 matrix_a_reuse matrix_b_reuse neg_lo:[0,0,1] neg_hi:[0,0,1]
// GFX12-ERR: :[[@LINE-1]]:1: error: instruction not supported on this GPU (gfx1200): v_wmma_scale_f32_16x16x128_f8f6f4
// GFX1250: v_wmma_scale_f32_16x16x128_f8f6f4 v[0:7], v[8:23], v[24:35], v[40:47], v1, v2 matrix_a_fmt:MATRIX_FMT_BF8 matrix_b_fmt:MATRIX_FMT_FP6 matrix_a_scale:MATRIX_SCALE_ROW1 matrix_b_scale:MATRIX_SCALE_ROW1 matrix_a_reuse matrix_b_reuse neg_lo:[0,0,1] neg_hi:[0,0,1] ; encoding: [0x00,0x68,0x35,0xcc,0x01,0x05,0x02,0x0a,0x00,0x0c,0x33,0xcc,0x08,0x31,0xa2,0x94]
// WAVESIZE-ERR: :[[@LINE-3]]:1: error: instruction requires wavesize=32

v_wmma_scale16_f32_16x16x128_f8f6f4 v[0:7], v[8:23], v[24:35], v[40:47], v[2:3], v[4:5] matrix_a_fmt:MATRIX_FMT_BF8 matrix_b_fmt:MATRIX_FMT_FP6 matrix_a_scale:MATRIX_SCALE_ROW1 matrix_b_scale:MATRIX_SCALE_ROW1 neg_lo:[0,0,1] neg_hi:[0,0,1]
// GFX12-ERR: :[[@LINE-1]]:1: error: instruction not supported on this GPU (gfx1200): v_wmma_scale16_f32_16x16x128_f8f6f4
// GFX1250: v_wmma_scale16_f32_16x16x128_f8f6f4 v[0:7], v[8:23], v[24:35], v[40:47], v[2:3], v[4:5] matrix_a_fmt:MATRIX_FMT_BF8 matrix_b_fmt:MATRIX_FMT_FP6 matrix_a_scale:MATRIX_SCALE_ROW1 matrix_b_scale:MATRIX_SCALE_ROW1 neg_lo:[0,0,1] neg_hi:[0,0,1] ; encoding: [0x00,0x08,0x3a,0xcc,0x02,0x09,0x02,0x0a,0x00,0x0c,0x33,0xcc,0x08,0x31,0xa2,0x94]
// WAVESIZE-ERR: :[[@LINE-3]]:1: error: instruction requires wavesize=32

v_wmma_scale16_f32_16x16x128_f8f6f4 v[0:7], v[8:23], v[24:35], v[40:47], s[2:3], s[4:5] matrix_a_fmt:MATRIX_FMT_BF8 matrix_b_fmt:MATRIX_FMT_FP6 matrix_a_scale:MATRIX_SCALE_ROW1 matrix_b_scale:MATRIX_SCALE_ROW1 matrix_a_reuse matrix_b_reuse neg_lo:[0,0,1] neg_hi:[0,0,1]
// GFX12-ERR: :[[@LINE-1]]:1: error: instruction not supported on this GPU (gfx1200): v_wmma_scale16_f32_16x16x128_f8f6f4
// GFX1250: v_wmma_scale16_f32_16x16x128_f8f6f4 v[0:7], v[8:23], v[24:35], v[40:47], s[2:3], s[4:5] matrix_a_fmt:MATRIX_FMT_BF8 matrix_b_fmt:MATRIX_FMT_FP6 matrix_a_scale:MATRIX_SCALE_ROW1 matrix_b_scale:MATRIX_SCALE_ROW1 matrix_a_reuse matrix_b_reuse neg_lo:[0,0,1] neg_hi:[0,0,1] ; encoding: [0x00,0x68,0x3a,0xcc,0x02,0x08,0x00,0x0a,0x00,0x0c,0x33,0xcc,0x08,0x31,0xa2,0x94]
// WAVESIZE-ERR: :[[@LINE-3]]:1: error: instruction requires wavesize=32

v_wmma_scale16_f32_16x16x128_f8f6f4 v[0:7], v[0:15], v[0:15], v[0:7], s[0:1], s[0:1]
// GFX12-ERR: :[[@LINE-1]]:1: error: instruction not supported on this GPU (gfx1200): v_wmma_scale16_f32_16x16x128_f8f6f4
// GFX1250: v_wmma_scale16_f32_16x16x128_f8f6f4 v[0:7], v[0:15], v[0:15], v[0:7], s[0:1], s[0:1] ; encoding: [0x00,0x00,0x3a,0xcc,0x00,0x00,0x00,0x02,0x00,0x00,0x33,0xcc,0x00,0x01,0x02,0x04]
// WAVESIZE-ERR: :[[@LINE-3]]:1: error: instruction requires wavesize=32

v_wmma_scale16_f32_16x16x128_f8f6f4 v[0:7], v[0:15], v[0:15], v[0:7], s[0:1], s[0:1] matrix_a_fmt:MATRIX_FMT_FP8
// GFX12-ERR: :[[@LINE-1]]:1: error: instruction not supported on this GPU (gfx1200): v_wmma_scale16_f32_16x16x128_f8f6f4
// GFX1250: v_wmma_scale16_f32_16x16x128_f8f6f4 v[0:7], v[0:15], v[0:15], v[0:7], s[0:1], s[0:1] ; encoding: [0x00,0x00,0x3a,0xcc,0x00,0x00,0x00,0x02,0x00,0x00,0x33,0xcc,0x00,0x01,0x02,0x04]
// WAVESIZE-ERR: :[[@LINE-3]]:1: error: instruction requires wavesize=32

v_wmma_scale16_f32_16x16x128_f8f6f4 v[0:7], v[0:15], v[0:15], v[0:7], s[0:1], s[0:1] matrix_a_fmt:MATRIX_FMT_BF8
// GFX12-ERR: :[[@LINE-1]]:1: error: instruction not supported on this GPU (gfx1200): v_wmma_scale16_f32_16x16x128_f8f6f4
// GFX1250: v_wmma_scale16_f32_16x16x128_f8f6f4 v[0:7], v[0:15], v[0:15], v[0:7], s[0:1], s[0:1] matrix_a_fmt:MATRIX_FMT_BF8 ; encoding: [0x00,0x00,0x3a,0xcc,0x00,0x00,0x00,0x02,0x00,0x08,0x33,0xcc,0x00,0x01,0x02,0x04]
// WAVESIZE-ERR: :[[@LINE-3]]:1: error: instruction requires wavesize=32

v_wmma_scale16_f32_16x16x128_f8f6f4 v[0:7], v[0:11], v[0:15], v[0:7], s[0:1], s[0:1] matrix_a_fmt:MATRIX_FMT_FP6
// GFX12-ERR: :[[@LINE-1]]:1: error: instruction not supported on this GPU (gfx1200): v_wmma_scale16_f32_16x16x128_f8f6f4
// GFX1250: v_wmma_scale16_f32_16x16x128_f8f6f4 v[0:7], v[0:11], v[0:15], v[0:7], s[0:1], s[0:1] matrix_a_fmt:MATRIX_FMT_FP6 ; encoding: [0x00,0x00,0x3a,0xcc,0x00,0x00,0x00,0x02,0x00,0x10,0x33,0xcc,0x00,0x01,0x02,0x04]
// WAVESIZE-ERR: :[[@LINE-3]]:1: error: instruction requires wavesize=32

v_wmma_scale16_f32_16x16x128_f8f6f4 v[0:7], v[0:11], v[0:15], v[0:7], s[0:1], s[0:1] matrix_a_fmt:MATRIX_FMT_BF6
// GFX12-ERR: :[[@LINE-1]]:1: error: instruction not supported on this GPU (gfx1200): v_wmma_scale16_f32_16x16x128_f8f6f4
// GFX1250: v_wmma_scale16_f32_16x16x128_f8f6f4 v[0:7], v[0:11], v[0:15], v[0:7], s[0:1], s[0:1] matrix_a_fmt:MATRIX_FMT_BF6 ; encoding: [0x00,0x00,0x3a,0xcc,0x00,0x00,0x00,0x02,0x00,0x18,0x33,0xcc,0x00,0x01,0x02,0x04]
// WAVESIZE-ERR: :[[@LINE-3]]:1: error: instruction requires wavesize=32

v_wmma_scale16_f32_16x16x128_f8f6f4 v[0:7], v[0:7], v[0:15], v[0:7], s[0:1], s[0:1] matrix_a_fmt:MATRIX_FMT_FP4
// GFX12-ERR: :[[@LINE-1]]:1: error: instruction not supported on this GPU (gfx1200): v_wmma_scale16_f32_16x16x128_f8f6f4
// GFX1250: v_wmma_scale16_f32_16x16x128_f8f6f4 v[0:7], v[0:7], v[0:15], v[0:7], s[0:1], s[0:1] matrix_a_fmt:MATRIX_FMT_FP4 ; encoding: [0x00,0x00,0x3a,0xcc,0x00,0x00,0x00,0x02,0x00,0x20,0x33,0xcc,0x00,0x01,0x02,0x04]
// WAVESIZE-ERR: :[[@LINE-3]]:1: error: instruction requires wavesize=32

v_wmma_scale16_f32_16x16x128_f8f6f4 v[0:7], v[0:15], v[0:15], v[0:7], s[0:1], s[0:1] matrix_b_fmt:MATRIX_FMT_FP8
// GFX12-ERR: :[[@LINE-1]]:1: error: instruction not supported on this GPU (gfx1200): v_wmma_scale16_f32_16x16x128_f8f6f4
// GFX1250: v_wmma_scale16_f32_16x16x128_f8f6f4 v[0:7], v[0:15], v[0:15], v[0:7], s[0:1], s[0:1] ; encoding: [0x00,0x00,0x3a,0xcc,0x00,0x00,0x00,0x02,0x00,0x00,0x33,0xcc,0x00,0x01,0x02,0x04]
// WAVESIZE-ERR: :[[@LINE-3]]:1: error: instruction requires wavesize=32

v_wmma_scale16_f32_16x16x128_f8f6f4 v[0:7], v[0:15], v[0:15], v[0:7], s[0:1], s[0:1] matrix_b_fmt:MATRIX_FMT_BF8
// GFX12-ERR: :[[@LINE-1]]:1: error: instruction not supported on this GPU (gfx1200): v_wmma_scale16_f32_16x16x128_f8f6f4
// GFX1250: v_wmma_scale16_f32_16x16x128_f8f6f4 v[0:7], v[0:15], v[0:15], v[0:7], s[0:1], s[0:1] matrix_b_fmt:MATRIX_FMT_BF8 ; encoding: [0x00,0x00,0x3a,0xcc,0x00,0x00,0x00,0x02,0x00,0x00,0x33,0xcc,0x00,0x01,0x02,0x0c]
// WAVESIZE-ERR: :[[@LINE-3]]:1: error: instruction requires wavesize=32

v_wmma_scale16_f32_16x16x128_f8f6f4 v[0:7], v[0:15], v[0:11], v[0:7], s[0:1], s[0:1] matrix_b_fmt:MATRIX_FMT_FP6
// GFX12-ERR: :[[@LINE-1]]:1: error: instruction not supported on this GPU (gfx1200): v_wmma_scale16_f32_16x16x128_f8f6f4
// GFX1250: v_wmma_scale16_f32_16x16x128_f8f6f4 v[0:7], v[0:15], v[0:11], v[0:7], s[0:1], s[0:1] matrix_b_fmt:MATRIX_FMT_FP6 ; encoding: [0x00,0x00,0x3a,0xcc,0x00,0x00,0x00,0x02,0x00,0x00,0x33,0xcc,0x00,0x01,0x02,0x14]
// WAVESIZE-ERR: :[[@LINE-3]]:1: error: instruction requires wavesize=32

v_wmma_scale16_f32_16x16x128_f8f6f4 v[0:7], v[0:15], v[0:11], v[0:7], s[0:1], s[0:1] matrix_b_fmt:MATRIX_FMT_BF6
// GFX12-ERR: :[[@LINE-1]]:1: error: instruction not supported on this GPU (gfx1200): v_wmma_scale16_f32_16x16x128_f8f6f4
// GFX1250: v_wmma_scale16_f32_16x16x128_f8f6f4 v[0:7], v[0:15], v[0:11], v[0:7], s[0:1], s[0:1] matrix_b_fmt:MATRIX_FMT_BF6 ; encoding: [0x00,0x00,0x3a,0xcc,0x00,0x00,0x00,0x02,0x00,0x00,0x33,0xcc,0x00,0x01,0x02,0x1c]
// WAVESIZE-ERR: :[[@LINE-3]]:1: error: instruction requires wavesize=32

v_wmma_scale16_f32_16x16x128_f8f6f4 v[0:7], v[0:15], v[0:7], v[0:7], s[0:1], s[0:1] matrix_b_fmt:MATRIX_FMT_FP4
// GFX12-ERR: :[[@LINE-1]]:1: error: instruction not supported on this GPU (gfx1200): v_wmma_scale16_f32_16x16x128_f8f6f4
// GFX1250: v_wmma_scale16_f32_16x16x128_f8f6f4 v[0:7], v[0:15], v[0:7], v[0:7], s[0:1], s[0:1] matrix_b_fmt:MATRIX_FMT_FP4 ; encoding: [0x00,0x00,0x3a,0xcc,0x00,0x00,0x00,0x02,0x00,0x40,0x33,0xcc,0x00,0x01,0x02,0x04]
// WAVESIZE-ERR: :[[@LINE-3]]:1: error: instruction requires wavesize=32

v_wmma_scale16_f32_16x16x128_f8f6f4 v[0:7], v[0:15], v[0:15], v[0:7], s[0:1], s[0:1] matrix_a_scale:MATRIX_SCALE_ROW0
// GFX12-ERR: :[[@LINE-1]]:1: error: instruction not supported on this GPU (gfx1200): v_wmma_scale16_f32_16x16x128_f8f6f4
// GFX1250: v_wmma_scale16_f32_16x16x128_f8f6f4 v[0:7], v[0:15], v[0:15], v[0:7], s[0:1], s[0:1] ; encoding: [0x00,0x00,0x3a,0xcc,0x00,0x00,0x00,0x02,0x00,0x00,0x33,0xcc,0x00,0x01,0x02,0x04]
// WAVESIZE-ERR: :[[@LINE-3]]:1: error: instruction requires wavesize=32

v_wmma_scale16_f32_16x16x128_f8f6f4 v[0:7], v[0:15], v[0:15], v[0:7], s[0:1], s[0:1] matrix_a_scale:MATRIX_SCALE_ROW1
// GFX12-ERR: :[[@LINE-1]]:1: error: instruction not supported on this GPU (gfx1200): v_wmma_scale16_f32_16x16x128_f8f6f4
// GFX1250: v_wmma_scale16_f32_16x16x128_f8f6f4 v[0:7], v[0:15], v[0:15], v[0:7], s[0:1], s[0:1] matrix_a_scale:MATRIX_SCALE_ROW1 ; encoding: [0x00,0x08,0x3a,0xcc,0x00,0x00,0x00,0x02,0x00,0x00,0x33,0xcc,0x00,0x01,0x02,0x04]
// WAVESIZE-ERR: :[[@LINE-3]]:1: error: instruction requires wavesize=32

v_wmma_scale16_f32_16x16x128_f8f6f4 v[0:7], v[0:15], v[0:15], v[0:7], s[0:1], s[0:1] matrix_a_reuse
// GFX12-ERR: :[[@LINE-1]]:1: error: instruction not supported on this GPU (gfx1200): v_wmma_scale16_f32_16x16x128_f8f6f4
// GFX1250: v_wmma_scale16_f32_16x16x128_f8f6f4 v[0:7], v[0:15], v[0:15], v[0:7], s[0:1], s[0:1] matrix_a_reuse ; encoding: [0x00,0x20,0x3a,0xcc,0x00,0x00,0x00,0x02,0x00,0x00,0x33,0xcc,0x00,0x01,0x02,0x04]
// WAVESIZE-ERR: :[[@LINE-3]]:1: error: instruction requires wavesize=32

v_wmma_scale16_f32_16x16x128_f8f6f4 v[0:7], v[0:15], v[0:15], v[0:7], s[0:1], s[0:1] matrix_a_scale:MATRIX_SCALE_ROW1 matrix_a_reuse
// GFX12-ERR: :[[@LINE-1]]:1: error: instruction not supported on this GPU (gfx1200): v_wmma_scale16_f32_16x16x128_f8f6f4
// GFX1250: v_wmma_scale16_f32_16x16x128_f8f6f4 v[0:7], v[0:15], v[0:15], v[0:7], s[0:1], s[0:1] matrix_a_scale:MATRIX_SCALE_ROW1 matrix_a_reuse ; encoding: [0x00,0x28,0x3a,0xcc,0x00,0x00,0x00,0x02,0x00,0x00,0x33,0xcc,0x00,0x01,0x02,0x04]
// WAVESIZE-ERR: :[[@LINE-3]]:1: error: instruction requires wavesize=32

v_wmma_scale16_f32_16x16x128_f8f6f4 v[0:7], v[0:15], v[0:15], v[0:7], s[0:1], s[0:1] matrix_b_scale:MATRIX_SCALE_ROW0
// GFX12-ERR: :[[@LINE-1]]:1: error: instruction not supported on this GPU (gfx1200): v_wmma_scale16_f32_16x16x128_f8f6f4
// GFX1250: v_wmma_scale16_f32_16x16x128_f8f6f4 v[0:7], v[0:15], v[0:15], v[0:7], s[0:1], s[0:1] ; encoding: [0x00,0x00,0x3a,0xcc,0x00,0x00,0x00,0x02,0x00,0x00,0x33,0xcc,0x00,0x01,0x02,0x04]
// WAVESIZE-ERR: :[[@LINE-3]]:1: error: instruction requires wavesize=32

v_wmma_scale16_f32_16x16x128_f8f6f4 v[0:7], v[0:15], v[0:15], v[0:7], s[0:1], s[0:1] matrix_b_scale:MATRIX_SCALE_ROW1
// GFX12-ERR: :[[@LINE-1]]:1: error: instruction not supported on this GPU (gfx1200): v_wmma_scale16_f32_16x16x128_f8f6f4
// GFX1250: v_wmma_scale16_f32_16x16x128_f8f6f4 v[0:7], v[0:15], v[0:15], v[0:7], s[0:1], s[0:1] matrix_b_scale:MATRIX_SCALE_ROW1 ; encoding: [0x00,0x00,0x3a,0xcc,0x00,0x00,0x00,0x0a,0x00,0x00,0x33,0xcc,0x00,0x01,0x02,0x04]
// WAVESIZE-ERR: :[[@LINE-3]]:1: error: instruction requires wavesize=32

v_wmma_scale16_f32_16x16x128_f8f6f4 v[0:7], v[0:15], v[0:15], v[0:7], s[0:1], s[0:1] matrix_b_reuse
// GFX12-ERR: :[[@LINE-1]]:1: error: instruction not supported on this GPU (gfx1200): v_wmma_scale16_f32_16x16x128_f8f6f4
// GFX1250: v_wmma_scale16_f32_16x16x128_f8f6f4 v[0:7], v[0:15], v[0:15], v[0:7], s[0:1], s[0:1] matrix_b_reuse ; encoding: [0x00,0x40,0x3a,0xcc,0x00,0x00,0x00,0x02,0x00,0x00,0x33,0xcc,0x00,0x01,0x02,0x04]
// WAVESIZE-ERR: :[[@LINE-3]]:1: error: instruction requires wavesize=32

v_wmma_scale16_f32_16x16x128_f8f6f4 v[0:7], v[0:15], v[0:15], v[0:7], s[0:1], s[0:1] matrix_b_scale:MATRIX_SCALE_ROW1 matrix_b_reuse
// GFX12-ERR: :[[@LINE-1]]:1: error: instruction not supported on this GPU (gfx1200): v_wmma_scale16_f32_16x16x128_f8f6f4
// GFX1250: v_wmma_scale16_f32_16x16x128_f8f6f4 v[0:7], v[0:15], v[0:15], v[0:7], s[0:1], s[0:1] matrix_b_scale:MATRIX_SCALE_ROW1 matrix_b_reuse ; encoding: [0x00,0x40,0x3a,0xcc,0x00,0x00,0x00,0x0a,0x00,0x00,0x33,0xcc,0x00,0x01,0x02,0x04]
// WAVESIZE-ERR: :[[@LINE-3]]:1: error: instruction requires wavesize=32

v_wmma_scale16_f32_16x16x128_f8f6f4 v[0:7], v[8:23], v[24:39], v[40:47], v[2:3], v[4:5] matrix_a_scale_fmt:MATRIX_SCALE_FMT_E8 matrix_b_scale_fmt:MATRIX_SCALE_FMT_E8
// GFX12-ERR: :[[@LINE-1]]:1: error: instruction not supported on this GPU (gfx1200): v_wmma_scale16_f32_16x16x128_f8f6f4
// GFX1250: v_wmma_scale16_f32_16x16x128_f8f6f4 v[0:7], v[8:23], v[24:39], v[40:47], v[2:3], v[4:5] ; encoding: [0x00,0x00,0x3a,0xcc,0x02,0x09,0x02,0x02,0x00,0x00,0x33,0xcc,0x08,0x31,0xa2,0x04]
// WAVESIZE-ERR: :[[@LINE-3]]:1: error: instruction requires wavesize=32

v_wmma_scale16_f32_16x16x128_f8f6f4 v[0:7], v[8:15], v[24:39], v[40:47], v[2:3], v[4:5] matrix_a_fmt:MATRIX_FMT_FP4 matrix_a_scale_fmt:MATRIX_SCALE_FMT_E5M3
// GFX12-ERR: :[[@LINE-1]]:1: error: instruction not supported on this GPU (gfx1200): v_wmma_scale16_f32_16x16x128_f8f6f4
// GFX1250: v_wmma_scale16_f32_16x16x128_f8f6f4 v[0:7], v[8:15], v[24:39], v[40:47], v[2:3], v[4:5] matrix_a_fmt:MATRIX_FMT_FP4 matrix_a_scale_fmt:MATRIX_SCALE_FMT_E5M3 ; encoding: [0x00,0x00,0x3a,0xcc,0x02,0x09,0x02,0x22,0x00,0x20,0x33,0xcc,0x08,0x31,0xa2,0x04]
// WAVESIZE-ERR: :[[@LINE-3]]:1: error: instruction requires wavesize=32

v_wmma_scale16_f32_16x16x128_f8f6f4 v[0:7], v[8:15], v[24:39], v[40:47], v[2:3], v[4:5] matrix_a_fmt:MATRIX_FMT_FP4 matrix_a_scale_fmt:MATRIX_SCALE_FMT_E4M3
// GFX12-ERR: :[[@LINE-1]]:1: error: instruction not supported on this GPU (gfx1200): v_wmma_scale16_f32_16x16x128_f8f6f4
// GFX1250: v_wmma_scale16_f32_16x16x128_f8f6f4 v[0:7], v[8:15], v[24:39], v[40:47], v[2:3], v[4:5] matrix_a_fmt:MATRIX_FMT_FP4 matrix_a_scale_fmt:MATRIX_SCALE_FMT_E4M3 ; encoding: [0x00,0x00,0x3a,0xcc,0x02,0x09,0x02,0x42,0x00,0x20,0x33,0xcc,0x08,0x31,0xa2,0x04]
// WAVESIZE-ERR: :[[@LINE-3]]:1: error: instruction requires wavesize=32

v_wmma_scale16_f32_16x16x128_f8f6f4 v[0:7], v[8:23], v[24:31], v[40:47], v[2:3], v[4:5] matrix_b_fmt:MATRIX_FMT_FP4 matrix_b_scale_fmt:MATRIX_SCALE_FMT_E5M3
// GFX12-ERR: :[[@LINE-1]]:1: error: instruction not supported on this GPU (gfx1200): v_wmma_scale16_f32_16x16x128_f8f6f4
// GFX1250: v_wmma_scale16_f32_16x16x128_f8f6f4 v[0:7], v[8:23], v[24:31], v[40:47], v[2:3], v[4:5] matrix_b_fmt:MATRIX_FMT_FP4 matrix_b_scale_fmt:MATRIX_SCALE_FMT_E5M3 ; encoding: [0x00,0x01,0x3a,0xcc,0x02,0x09,0x02,0x02,0x00,0x40,0x33,0xcc,0x08,0x31,0xa2,0x04]
// WAVESIZE-ERR: :[[@LINE-3]]:1: error: instruction requires wavesize=32

v_wmma_scale16_f32_16x16x128_f8f6f4 v[0:7], v[8:23], v[24:31], v[40:47], v[2:3], v[4:5] matrix_b_fmt:MATRIX_FMT_FP4 matrix_b_scale_fmt:MATRIX_SCALE_FMT_E4M3
// GFX12-ERR: :[[@LINE-1]]:1: error: instruction not supported on this GPU (gfx1200): v_wmma_scale16_f32_16x16x128_f8f6f4
// GFX1250: v_wmma_scale16_f32_16x16x128_f8f6f4 v[0:7], v[8:23], v[24:31], v[40:47], v[2:3], v[4:5] matrix_b_fmt:MATRIX_FMT_FP4 matrix_b_scale_fmt:MATRIX_SCALE_FMT_E4M3 ; encoding: [0x00,0x02,0x3a,0xcc,0x02,0x09,0x02,0x02,0x00,0x40,0x33,0xcc,0x08,0x31,0xa2,0x04]
// WAVESIZE-ERR: :[[@LINE-3]]:1: error: instruction requires wavesize=32

v_wmma_scale16_f32_16x16x128_f8f6f4 v[0:7], v[8:23], v[24:35], v[40:47], v[2:3], v[4:5] matrix_a_fmt:MATRIX_FMT_BF8 matrix_b_fmt:MATRIX_FMT_FP6 matrix_a_scale:MATRIX_SCALE_ROW1 matrix_b_scale:MATRIX_SCALE_ROW1 matrix_a_scale_fmt:MATRIX_SCALE_FMT_E8 matrix_b_scale_fmt:MATRIX_SCALE_FMT_E8 matrix_a_reuse matrix_b_reuse neg_lo:[0,0,1] neg_hi:[0,0,1]
// GFX12-ERR: :[[@LINE-1]]:1: error: instruction not supported on this GPU (gfx1200): v_wmma_scale16_f32_16x16x128_f8f6f4
// GFX1250: v_wmma_scale16_f32_16x16x128_f8f6f4 v[0:7], v[8:23], v[24:35], v[40:47], v[2:3], v[4:5] matrix_a_fmt:MATRIX_FMT_BF8 matrix_b_fmt:MATRIX_FMT_FP6 matrix_a_scale:MATRIX_SCALE_ROW1 matrix_b_scale:MATRIX_SCALE_ROW1 matrix_a_reuse matrix_b_reuse neg_lo:[0,0,1] neg_hi:[0,0,1] ; encoding: [0x00,0x68,0x3a,0xcc,0x02,0x09,0x02,0x0a,0x00,0x0c,0x33,0xcc,0x08,0x31,0xa2,0x94]
// WAVESIZE-ERR: :[[@LINE-3]]:1: error: instruction requires wavesize=32

v_wmma_f16_16x16x128_fp8_fp8 v[16:19], v[0:15], v[8:23], v[16:19]
// GFX12-ERR: :[[@LINE-1]]:1: error: instruction not supported on this GPU (gfx1200): v_wmma_f16_16x16x128_fp8_fp8
// GFX1250: v_wmma_f16_16x16x128_fp8_fp8 v[16:19], v[0:15], v[8:23], v[16:19] ; encoding: [0x10,0x00,0x84,0xcc,0x00,0x11,0x42,0x1c]
// WAVESIZE-ERR: :[[@LINE-3]]:1: error: instruction requires wavesize=32

v_wmma_f16_16x16x128_fp8_fp8 v[16:19], v[0:15], v[8:23], 1.0
// GFX12-ERR: :[[@LINE-1]]:1: error: instruction not supported on this GPU (gfx1200): v_wmma_f16_16x16x128_fp8_fp8
// GFX1250: v_wmma_f16_16x16x128_fp8_fp8 v[16:19], v[0:15], v[8:23], 1.0 ; encoding: [0x10,0x00,0x84,0xcc,0x00,0x11,0xca,0x1b]
// WAVESIZE-ERR: :[[@LINE-3]]:1: error: instruction requires wavesize=32

v_wmma_f16_16x16x128_fp8_fp8 v[16:19], v[0:15], v[8:23], 1.0 neg_lo:[0,0,1]
// GFX12-ERR: :[[@LINE-1]]:1: error: instruction not supported on this GPU (gfx1200): v_wmma_f16_16x16x128_fp8_fp8
// GFX1250: v_wmma_f16_16x16x128_fp8_fp8 v[16:19], v[0:15], v[8:23], 1.0 neg_lo:[0,0,1] ; encoding: [0x10,0x00,0x84,0xcc,0x00,0x11,0xca,0x9b]
// WAVESIZE-ERR: :[[@LINE-3]]:1: error: instruction requires wavesize=32

v_wmma_f16_16x16x128_fp8_fp8 v[16:19], v[0:15], v[8:23], v[16:19] neg_lo:[0,0,1]
// GFX12-ERR: :[[@LINE-1]]:1: error: instruction not supported on this GPU (gfx1200): v_wmma_f16_16x16x128_fp8_fp8
// GFX1250: v_wmma_f16_16x16x128_fp8_fp8 v[16:19], v[0:15], v[8:23], v[16:19] neg_lo:[0,0,1] ; encoding: [0x10,0x00,0x84,0xcc,0x00,0x11,0x42,0x9c]
// WAVESIZE-ERR: :[[@LINE-3]]:1: error: instruction requires wavesize=32

v_wmma_f16_16x16x128_fp8_fp8 v[16:19], v[0:15], v[8:23], v[16:19] neg_hi:[0,0,1]
// GFX12-ERR: :[[@LINE-1]]:1: error: instruction not supported on this GPU (gfx1200): v_wmma_f16_16x16x128_fp8_fp8
// GFX1250: v_wmma_f16_16x16x128_fp8_fp8 v[16:19], v[0:15], v[8:23], v[16:19] neg_hi:[0,0,1] ; encoding: [0x10,0x04,0x84,0xcc,0x00,0x11,0x42,0x1c]
// WAVESIZE-ERR: :[[@LINE-3]]:1: error: instruction requires wavesize=32

v_wmma_f16_16x16x128_fp8_fp8 v[16:19], v[0:15], v[8:23], v[16:19] matrix_a_reuse
// GFX12-ERR: :[[@LINE-1]]:1: error: instruction not supported on this GPU (gfx1200): v_wmma_f16_16x16x128_fp8_fp8
// GFX1250: v_wmma_f16_16x16x128_fp8_fp8 v[16:19], v[0:15], v[8:23], v[16:19] matrix_a_reuse ; encoding: [0x10,0x20,0x84,0xcc,0x00,0x11,0x42,0x1c]
// WAVESIZE-ERR: :[[@LINE-3]]:1: error: instruction requires wavesize=32

v_wmma_f16_16x16x128_fp8_fp8 v[16:19], v[0:15], v[8:23], v[16:19] matrix_b_reuse
// GFX12-ERR: :[[@LINE-1]]:1: error: instruction not supported on this GPU (gfx1200): v_wmma_f16_16x16x128_fp8_fp8
// GFX1250: v_wmma_f16_16x16x128_fp8_fp8 v[16:19], v[0:15], v[8:23], v[16:19] matrix_b_reuse ; encoding: [0x10,0x40,0x84,0xcc,0x00,0x11,0x42,0x1c]
// WAVESIZE-ERR: :[[@LINE-3]]:1: error: instruction requires wavesize=32

v_wmma_f16_16x16x128_fp8_bf8 v[16:19], v[0:15], v[8:23], v[16:19]
// GFX12-ERR: :[[@LINE-1]]:1: error: instruction not supported on this GPU (gfx1200): v_wmma_f16_16x16x128_fp8_bf8
// GFX1250: v_wmma_f16_16x16x128_fp8_bf8 v[16:19], v[0:15], v[8:23], v[16:19] ; encoding: [0x10,0x00,0x85,0xcc,0x00,0x11,0x42,0x1c]
// WAVESIZE-ERR: :[[@LINE-3]]:1: error: instruction requires wavesize=32

v_wmma_f16_16x16x128_fp8_bf8 v[16:19], v[0:15], v[8:23], 1.0
// GFX12-ERR: :[[@LINE-1]]:1: error: instruction not supported on this GPU (gfx1200): v_wmma_f16_16x16x128_fp8_bf8
// GFX1250: v_wmma_f16_16x16x128_fp8_bf8 v[16:19], v[0:15], v[8:23], 1.0 ; encoding: [0x10,0x00,0x85,0xcc,0x00,0x11,0xca,0x1b]
// WAVESIZE-ERR: :[[@LINE-3]]:1: error: instruction requires wavesize=32

v_wmma_f16_16x16x128_fp8_bf8 v[16:19], v[0:15], v[8:23], 1.0 neg_lo:[0,0,1]
// GFX12-ERR: :[[@LINE-1]]:1: error: instruction not supported on this GPU (gfx1200): v_wmma_f16_16x16x128_fp8_bf8
// GFX1250: v_wmma_f16_16x16x128_fp8_bf8 v[16:19], v[0:15], v[8:23], 1.0 neg_lo:[0,0,1] ; encoding: [0x10,0x00,0x85,0xcc,0x00,0x11,0xca,0x9b]
// WAVESIZE-ERR: :[[@LINE-3]]:1: error: instruction requires wavesize=32

v_wmma_f16_16x16x128_fp8_bf8 v[16:19], v[0:15], v[8:23], v[16:19] neg_lo:[0,0,1]
// GFX12-ERR: :[[@LINE-1]]:1: error: instruction not supported on this GPU (gfx1200): v_wmma_f16_16x16x128_fp8_bf8
// GFX1250: v_wmma_f16_16x16x128_fp8_bf8 v[16:19], v[0:15], v[8:23], v[16:19] neg_lo:[0,0,1] ; encoding: [0x10,0x00,0x85,0xcc,0x00,0x11,0x42,0x9c]
// WAVESIZE-ERR: :[[@LINE-3]]:1: error: instruction requires wavesize=32

v_wmma_f16_16x16x128_fp8_bf8 v[16:19], v[0:15], v[8:23], v[16:19] neg_hi:[0,0,1]
// GFX12-ERR: :[[@LINE-1]]:1: error: instruction not supported on this GPU (gfx1200): v_wmma_f16_16x16x128_fp8_bf8
// GFX1250: v_wmma_f16_16x16x128_fp8_bf8 v[16:19], v[0:15], v[8:23], v[16:19] neg_hi:[0,0,1] ; encoding: [0x10,0x04,0x85,0xcc,0x00,0x11,0x42,0x1c]
// WAVESIZE-ERR: :[[@LINE-3]]:1: error: instruction requires wavesize=32

v_wmma_f16_16x16x128_fp8_bf8 v[16:19], v[0:15], v[8:23], v[16:19] matrix_a_reuse
// GFX12-ERR: :[[@LINE-1]]:1: error: instruction not supported on this GPU (gfx1200): v_wmma_f16_16x16x128_fp8_bf8
// GFX1250: v_wmma_f16_16x16x128_fp8_bf8 v[16:19], v[0:15], v[8:23], v[16:19] matrix_a_reuse ; encoding: [0x10,0x20,0x85,0xcc,0x00,0x11,0x42,0x1c]
// WAVESIZE-ERR: :[[@LINE-3]]:1: error: instruction requires wavesize=32

v_wmma_f16_16x16x128_fp8_bf8 v[16:19], v[0:15], v[8:23], v[16:19] matrix_b_reuse
// GFX12-ERR: :[[@LINE-1]]:1: error: instruction not supported on this GPU (gfx1200): v_wmma_f16_16x16x128_fp8_bf8
// GFX1250: v_wmma_f16_16x16x128_fp8_bf8 v[16:19], v[0:15], v[8:23], v[16:19] matrix_b_reuse ; encoding: [0x10,0x40,0x85,0xcc,0x00,0x11,0x42,0x1c]
// WAVESIZE-ERR: :[[@LINE-3]]:1: error: instruction requires wavesize=32

v_wmma_f16_16x16x128_bf8_fp8 v[16:19], v[0:15], v[8:23], v[16:19]
// GFX12-ERR: :[[@LINE-1]]:1: error: instruction not supported on this GPU (gfx1200): v_wmma_f16_16x16x128_bf8_fp8
// GFX1250: v_wmma_f16_16x16x128_bf8_fp8 v[16:19], v[0:15], v[8:23], v[16:19] ; encoding: [0x10,0x00,0x86,0xcc,0x00,0x11,0x42,0x1c]
// WAVESIZE-ERR: :[[@LINE-3]]:1: error: instruction requires wavesize=32

v_wmma_f16_16x16x128_bf8_fp8 v[16:19], v[0:15], v[8:23], 1.0
// GFX12-ERR: :[[@LINE-1]]:1: error: instruction not supported on this GPU (gfx1200): v_wmma_f16_16x16x128_bf8_fp8
// GFX1250: v_wmma_f16_16x16x128_bf8_fp8 v[16:19], v[0:15], v[8:23], 1.0 ; encoding: [0x10,0x00,0x86,0xcc,0x00,0x11,0xca,0x1b]
// WAVESIZE-ERR: :[[@LINE-3]]:1: error: instruction requires wavesize=32

v_wmma_f16_16x16x128_bf8_fp8 v[16:19], v[0:15], v[8:23], 1.0 neg_lo:[0,0,1]
// GFX12-ERR: :[[@LINE-1]]:1: error: instruction not supported on this GPU (gfx1200): v_wmma_f16_16x16x128_bf8_fp8
// GFX1250: v_wmma_f16_16x16x128_bf8_fp8 v[16:19], v[0:15], v[8:23], 1.0 neg_lo:[0,0,1] ; encoding: [0x10,0x00,0x86,0xcc,0x00,0x11,0xca,0x9b]
// WAVESIZE-ERR: :[[@LINE-3]]:1: error: instruction requires wavesize=32

v_wmma_f16_16x16x128_bf8_fp8 v[16:19], v[0:15], v[8:23], v[16:19] neg_lo:[0,0,1]
// GFX12-ERR: :[[@LINE-1]]:1: error: instruction not supported on this GPU (gfx1200): v_wmma_f16_16x16x128_bf8_fp8
// GFX1250: v_wmma_f16_16x16x128_bf8_fp8 v[16:19], v[0:15], v[8:23], v[16:19] neg_lo:[0,0,1] ; encoding: [0x10,0x00,0x86,0xcc,0x00,0x11,0x42,0x9c]
// WAVESIZE-ERR: :[[@LINE-3]]:1: error: instruction requires wavesize=32

v_wmma_f16_16x16x128_bf8_fp8 v[16:19], v[0:15], v[8:23], v[16:19] neg_hi:[0,0,1]
// GFX12-ERR: :[[@LINE-1]]:1: error: instruction not supported on this GPU (gfx1200): v_wmma_f16_16x16x128_bf8_fp8
// GFX1250: v_wmma_f16_16x16x128_bf8_fp8 v[16:19], v[0:15], v[8:23], v[16:19] neg_hi:[0,0,1] ; encoding: [0x10,0x04,0x86,0xcc,0x00,0x11,0x42,0x1c]
// WAVESIZE-ERR: :[[@LINE-3]]:1: error: instruction requires wavesize=32

v_wmma_f16_16x16x128_bf8_fp8 v[16:19], v[0:15], v[8:23], v[16:19] matrix_a_reuse
// GFX12-ERR: :[[@LINE-1]]:1: error: instruction not supported on this GPU (gfx1200): v_wmma_f16_16x16x128_bf8_fp8
// GFX1250: v_wmma_f16_16x16x128_bf8_fp8 v[16:19], v[0:15], v[8:23], v[16:19] matrix_a_reuse ; encoding: [0x10,0x20,0x86,0xcc,0x00,0x11,0x42,0x1c]
// WAVESIZE-ERR: :[[@LINE-3]]:1: error: instruction requires wavesize=32

v_wmma_f16_16x16x128_bf8_fp8 v[16:19], v[0:15], v[8:23], v[16:19] matrix_b_reuse
// GFX12-ERR: :[[@LINE-1]]:1: error: instruction not supported on this GPU (gfx1200): v_wmma_f16_16x16x128_bf8_fp8
// GFX1250: v_wmma_f16_16x16x128_bf8_fp8 v[16:19], v[0:15], v[8:23], v[16:19] matrix_b_reuse ; encoding: [0x10,0x40,0x86,0xcc,0x00,0x11,0x42,0x1c]
// WAVESIZE-ERR: :[[@LINE-3]]:1: error: instruction requires wavesize=32

v_wmma_f16_16x16x128_bf8_bf8 v[16:19], v[0:15], v[8:23], v[16:19]
// GFX12-ERR: :[[@LINE-1]]:1: error: instruction not supported on this GPU (gfx1200): v_wmma_f16_16x16x128_bf8_bf8
// GFX1250: v_wmma_f16_16x16x128_bf8_bf8 v[16:19], v[0:15], v[8:23], v[16:19] ; encoding: [0x10,0x00,0x87,0xcc,0x00,0x11,0x42,0x1c]
// WAVESIZE-ERR: :[[@LINE-3]]:1: error: instruction requires wavesize=32

v_wmma_f16_16x16x128_bf8_bf8 v[16:19], v[0:15], v[8:23], 1.0
// GFX12-ERR: :[[@LINE-1]]:1: error: instruction not supported on this GPU (gfx1200): v_wmma_f16_16x16x128_bf8_bf8
// GFX1250: v_wmma_f16_16x16x128_bf8_bf8 v[16:19], v[0:15], v[8:23], 1.0 ; encoding: [0x10,0x00,0x87,0xcc,0x00,0x11,0xca,0x1b]
// WAVESIZE-ERR: :[[@LINE-3]]:1: error: instruction requires wavesize=32

v_wmma_f16_16x16x128_bf8_bf8 v[16:19], v[0:15], v[8:23], 1.0 neg_lo:[0,0,1]
// GFX12-ERR: :[[@LINE-1]]:1: error: instruction not supported on this GPU (gfx1200): v_wmma_f16_16x16x128_bf8_bf8
// GFX1250: v_wmma_f16_16x16x128_bf8_bf8 v[16:19], v[0:15], v[8:23], 1.0 neg_lo:[0,0,1] ; encoding: [0x10,0x00,0x87,0xcc,0x00,0x11,0xca,0x9b]
// WAVESIZE-ERR: :[[@LINE-3]]:1: error: instruction requires wavesize=32

v_wmma_f16_16x16x128_bf8_bf8 v[16:19], v[0:15], v[8:23], v[16:19] neg_lo:[0,0,1]
// GFX12-ERR: :[[@LINE-1]]:1: error: instruction not supported on this GPU (gfx1200): v_wmma_f16_16x16x128_bf8_bf8
// GFX1250: v_wmma_f16_16x16x128_bf8_bf8 v[16:19], v[0:15], v[8:23], v[16:19] neg_lo:[0,0,1] ; encoding: [0x10,0x00,0x87,0xcc,0x00,0x11,0x42,0x9c]
// WAVESIZE-ERR: :[[@LINE-3]]:1: error: instruction requires wavesize=32

v_wmma_f16_16x16x128_bf8_bf8 v[16:19], v[0:15], v[8:23], v[16:19] neg_hi:[0,0,1]
// GFX12-ERR: :[[@LINE-1]]:1: error: instruction not supported on this GPU (gfx1200): v_wmma_f16_16x16x128_bf8_bf8
// GFX1250: v_wmma_f16_16x16x128_bf8_bf8 v[16:19], v[0:15], v[8:23], v[16:19] neg_hi:[0,0,1] ; encoding: [0x10,0x04,0x87,0xcc,0x00,0x11,0x42,0x1c]
// WAVESIZE-ERR: :[[@LINE-3]]:1: error: instruction requires wavesize=32

v_wmma_f16_16x16x128_bf8_bf8 v[16:19], v[0:15], v[8:23], v[16:19] matrix_a_reuse
// GFX12-ERR: :[[@LINE-1]]:1: error: instruction not supported on this GPU (gfx1200): v_wmma_f16_16x16x128_bf8_bf8
// GFX1250: v_wmma_f16_16x16x128_bf8_bf8 v[16:19], v[0:15], v[8:23], v[16:19] matrix_a_reuse ; encoding: [0x10,0x20,0x87,0xcc,0x00,0x11,0x42,0x1c]
// WAVESIZE-ERR: :[[@LINE-3]]:1: error: instruction requires wavesize=32

v_wmma_f16_16x16x128_bf8_bf8 v[16:19], v[0:15], v[8:23], v[16:19] matrix_b_reuse
// GFX12-ERR: :[[@LINE-1]]:1: error: instruction not supported on this GPU (gfx1200): v_wmma_f16_16x16x128_bf8_bf8
// GFX1250: v_wmma_f16_16x16x128_bf8_bf8 v[16:19], v[0:15], v[8:23], v[16:19] matrix_b_reuse ; encoding: [0x10,0x40,0x87,0xcc,0x00,0x11,0x42,0x1c]
// WAVESIZE-ERR: :[[@LINE-3]]:1: error: instruction requires wavesize=32

v_wmma_f32_16x16x128_fp8_fp8 v[16:23], v[0:15], v[8:23], v[16:23]
// GFX12-ERR: :[[@LINE-1]]:1: error: instruction not supported on this GPU (gfx1200): v_wmma_f32_16x16x128_fp8_fp8
// GFX1250: v_wmma_f32_16x16x128_fp8_fp8 v[16:23], v[0:15], v[8:23], v[16:23] ; encoding: [0x10,0x00,0x80,0xcc,0x00,0x11,0x42,0x1c]
// WAVESIZE-ERR: :[[@LINE-3]]:1: error: instruction requires wavesize=32

v_wmma_f32_16x16x128_fp8_fp8 v[16:23], v[0:15], v[8:23], 1.0
// GFX12-ERR: :[[@LINE-1]]:1: error: instruction not supported on this GPU (gfx1200): v_wmma_f32_16x16x128_fp8_fp8
// GFX1250: v_wmma_f32_16x16x128_fp8_fp8 v[16:23], v[0:15], v[8:23], 1.0 ; encoding: [0x10,0x00,0x80,0xcc,0x00,0x11,0xca,0x1b]
// WAVESIZE-ERR: :[[@LINE-3]]:1: error: instruction requires wavesize=32

v_wmma_f32_16x16x128_fp8_fp8 v[16:23], v[0:15], v[8:23], 1.0 neg_lo:[0,0,1]
// GFX12-ERR: :[[@LINE-1]]:1: error: instruction not supported on this GPU (gfx1200): v_wmma_f32_16x16x128_fp8_fp8
// GFX1250: v_wmma_f32_16x16x128_fp8_fp8 v[16:23], v[0:15], v[8:23], 1.0 neg_lo:[0,0,1] ; encoding: [0x10,0x00,0x80,0xcc,0x00,0x11,0xca,0x9b]
// WAVESIZE-ERR: :[[@LINE-3]]:1: error: instruction requires wavesize=32

v_wmma_f32_16x16x128_fp8_fp8 v[16:23], v[0:15], v[8:23], v[16:23] neg_lo:[0,0,1]
// GFX12-ERR: :[[@LINE-1]]:1: error: instruction not supported on this GPU (gfx1200): v_wmma_f32_16x16x128_fp8_fp8
// GFX1250: v_wmma_f32_16x16x128_fp8_fp8 v[16:23], v[0:15], v[8:23], v[16:23] neg_lo:[0,0,1] ; encoding: [0x10,0x00,0x80,0xcc,0x00,0x11,0x42,0x9c]
// WAVESIZE-ERR: :[[@LINE-3]]:1: error: instruction requires wavesize=32

v_wmma_f32_16x16x128_fp8_fp8 v[16:23], v[0:15], v[8:23], v[16:23] neg_hi:[0,0,1]
// GFX12-ERR: :[[@LINE-1]]:1: error: instruction not supported on this GPU (gfx1200): v_wmma_f32_16x16x128_fp8_fp8
// GFX1250: v_wmma_f32_16x16x128_fp8_fp8 v[16:23], v[0:15], v[8:23], v[16:23] neg_hi:[0,0,1] ; encoding: [0x10,0x04,0x80,0xcc,0x00,0x11,0x42,0x1c]
// WAVESIZE-ERR: :[[@LINE-3]]:1: error: instruction requires wavesize=32

v_wmma_f32_16x16x128_fp8_fp8 v[16:23], v[0:15], v[8:23], v[16:23] matrix_a_reuse
// GFX12-ERR: :[[@LINE-1]]:1: error: instruction not supported on this GPU (gfx1200): v_wmma_f32_16x16x128_fp8_fp8
// GFX1250: v_wmma_f32_16x16x128_fp8_fp8 v[16:23], v[0:15], v[8:23], v[16:23] matrix_a_reuse ; encoding: [0x10,0x20,0x80,0xcc,0x00,0x11,0x42,0x1c]
// WAVESIZE-ERR: :[[@LINE-3]]:1: error: instruction requires wavesize=32

v_wmma_f32_16x16x128_fp8_fp8 v[16:23], v[0:15], v[8:23], v[16:23] matrix_b_reuse
// GFX12-ERR: :[[@LINE-1]]:1: error: instruction not supported on this GPU (gfx1200): v_wmma_f32_16x16x128_fp8_fp8
// GFX1250: v_wmma_f32_16x16x128_fp8_fp8 v[16:23], v[0:15], v[8:23], v[16:23] matrix_b_reuse ; encoding: [0x10,0x40,0x80,0xcc,0x00,0x11,0x42,0x1c]
// WAVESIZE-ERR: :[[@LINE-3]]:1: error: instruction requires wavesize=32

v_wmma_f32_16x16x128_fp8_bf8 v[16:23], v[0:15], v[8:23], v[16:23]
// GFX12-ERR: :[[@LINE-1]]:1: error: instruction not supported on this GPU (gfx1200): v_wmma_f32_16x16x128_fp8_bf8
// GFX1250: v_wmma_f32_16x16x128_fp8_bf8 v[16:23], v[0:15], v[8:23], v[16:23] ; encoding: [0x10,0x00,0x81,0xcc,0x00,0x11,0x42,0x1c]
// WAVESIZE-ERR: :[[@LINE-3]]:1: error: instruction requires wavesize=32

v_wmma_f32_16x16x128_fp8_bf8 v[16:23], v[0:15], v[8:23], 1.0
// GFX12-ERR: :[[@LINE-1]]:1: error: instruction not supported on this GPU (gfx1200): v_wmma_f32_16x16x128_fp8_bf8
// GFX1250: v_wmma_f32_16x16x128_fp8_bf8 v[16:23], v[0:15], v[8:23], 1.0 ; encoding: [0x10,0x00,0x81,0xcc,0x00,0x11,0xca,0x1b]
// WAVESIZE-ERR: :[[@LINE-3]]:1: error: instruction requires wavesize=32

v_wmma_f32_16x16x128_fp8_bf8 v[16:23], v[0:15], v[8:23], 1.0 neg_lo:[0,0,1]
// GFX12-ERR: :[[@LINE-1]]:1: error: instruction not supported on this GPU (gfx1200): v_wmma_f32_16x16x128_fp8_bf8
// GFX1250: v_wmma_f32_16x16x128_fp8_bf8 v[16:23], v[0:15], v[8:23], 1.0 neg_lo:[0,0,1] ; encoding: [0x10,0x00,0x81,0xcc,0x00,0x11,0xca,0x9b]
// WAVESIZE-ERR: :[[@LINE-3]]:1: error: instruction requires wavesize=32

v_wmma_f32_16x16x128_fp8_bf8 v[16:23], v[0:15], v[8:23], v[16:23] neg_lo:[0,0,1]
// GFX12-ERR: :[[@LINE-1]]:1: error: instruction not supported on this GPU (gfx1200): v_wmma_f32_16x16x128_fp8_bf8
// GFX1250: v_wmma_f32_16x16x128_fp8_bf8 v[16:23], v[0:15], v[8:23], v[16:23] neg_lo:[0,0,1] ; encoding: [0x10,0x00,0x81,0xcc,0x00,0x11,0x42,0x9c]
// WAVESIZE-ERR: :[[@LINE-3]]:1: error: instruction requires wavesize=32

v_wmma_f32_16x16x128_fp8_bf8 v[16:23], v[0:15], v[8:23], v[16:23] neg_hi:[0,0,1]
// GFX12-ERR: :[[@LINE-1]]:1: error: instruction not supported on this GPU (gfx1200): v_wmma_f32_16x16x128_fp8_bf8
// GFX1250: v_wmma_f32_16x16x128_fp8_bf8 v[16:23], v[0:15], v[8:23], v[16:23] neg_hi:[0,0,1] ; encoding: [0x10,0x04,0x81,0xcc,0x00,0x11,0x42,0x1c]
// WAVESIZE-ERR: :[[@LINE-3]]:1: error: instruction requires wavesize=32

v_wmma_f32_16x16x128_fp8_bf8 v[16:23], v[0:15], v[8:23], v[16:23] matrix_a_reuse
// GFX12-ERR: :[[@LINE-1]]:1: error: instruction not supported on this GPU (gfx1200): v_wmma_f32_16x16x128_fp8_bf8
// GFX1250: v_wmma_f32_16x16x128_fp8_bf8 v[16:23], v[0:15], v[8:23], v[16:23] matrix_a_reuse ; encoding: [0x10,0x20,0x81,0xcc,0x00,0x11,0x42,0x1c]
// WAVESIZE-ERR: :[[@LINE-3]]:1: error: instruction requires wavesize=32

v_wmma_f32_16x16x128_fp8_bf8 v[16:23], v[0:15], v[8:23], v[16:23] matrix_b_reuse
// GFX12-ERR: :[[@LINE-1]]:1: error: instruction not supported on this GPU (gfx1200): v_wmma_f32_16x16x128_fp8_bf8
// GFX1250: v_wmma_f32_16x16x128_fp8_bf8 v[16:23], v[0:15], v[8:23], v[16:23] matrix_b_reuse ; encoding: [0x10,0x40,0x81,0xcc,0x00,0x11,0x42,0x1c]
// WAVESIZE-ERR: :[[@LINE-3]]:1: error: instruction requires wavesize=32

v_wmma_f32_16x16x128_bf8_fp8 v[16:23], v[0:15], v[8:23], v[16:23]
// GFX12-ERR: :[[@LINE-1]]:1: error: instruction not supported on this GPU (gfx1200): v_wmma_f32_16x16x128_bf8_fp8
// GFX1250: v_wmma_f32_16x16x128_bf8_fp8 v[16:23], v[0:15], v[8:23], v[16:23] ; encoding: [0x10,0x00,0x82,0xcc,0x00,0x11,0x42,0x1c]
// WAVESIZE-ERR: :[[@LINE-3]]:1: error: instruction requires wavesize=32

v_wmma_f32_16x16x128_bf8_fp8 v[16:23], v[0:15], v[8:23], 1.0
// GFX12-ERR: :[[@LINE-1]]:1: error: instruction not supported on this GPU (gfx1200): v_wmma_f32_16x16x128_bf8_fp8
// GFX1250: v_wmma_f32_16x16x128_bf8_fp8 v[16:23], v[0:15], v[8:23], 1.0 ; encoding: [0x10,0x00,0x82,0xcc,0x00,0x11,0xca,0x1b]
// WAVESIZE-ERR: :[[@LINE-3]]:1: error: instruction requires wavesize=32

v_wmma_f32_16x16x128_bf8_fp8 v[16:23], v[0:15], v[8:23], 1.0 neg_lo:[0,0,1]
// GFX12-ERR: :[[@LINE-1]]:1: error: instruction not supported on this GPU (gfx1200): v_wmma_f32_16x16x128_bf8_fp8
// GFX1250: v_wmma_f32_16x16x128_bf8_fp8 v[16:23], v[0:15], v[8:23], 1.0 neg_lo:[0,0,1] ; encoding: [0x10,0x00,0x82,0xcc,0x00,0x11,0xca,0x9b]
// WAVESIZE-ERR: :[[@LINE-3]]:1: error: instruction requires wavesize=32

v_wmma_f32_16x16x128_bf8_fp8 v[16:23], v[0:15], v[8:23], v[16:23] neg_lo:[0,0,1]
// GFX12-ERR: :[[@LINE-1]]:1: error: instruction not supported on this GPU (gfx1200): v_wmma_f32_16x16x128_bf8_fp8
// GFX1250: v_wmma_f32_16x16x128_bf8_fp8 v[16:23], v[0:15], v[8:23], v[16:23] neg_lo:[0,0,1] ; encoding: [0x10,0x00,0x82,0xcc,0x00,0x11,0x42,0x9c]
// WAVESIZE-ERR: :[[@LINE-3]]:1: error: instruction requires wavesize=32

v_wmma_f32_16x16x128_bf8_fp8 v[16:23], v[0:15], v[8:23], v[16:23] neg_hi:[0,0,1]
// GFX12-ERR: :[[@LINE-1]]:1: error: instruction not supported on this GPU (gfx1200): v_wmma_f32_16x16x128_bf8_fp8
// GFX1250: v_wmma_f32_16x16x128_bf8_fp8 v[16:23], v[0:15], v[8:23], v[16:23] neg_hi:[0,0,1] ; encoding: [0x10,0x04,0x82,0xcc,0x00,0x11,0x42,0x1c]
// WAVESIZE-ERR: :[[@LINE-3]]:1: error: instruction requires wavesize=32

v_wmma_f32_16x16x128_bf8_fp8 v[16:23], v[0:15], v[8:23], v[16:23] matrix_a_reuse
// GFX12-ERR: :[[@LINE-1]]:1: error: instruction not supported on this GPU (gfx1200): v_wmma_f32_16x16x128_bf8_fp8
// GFX1250: v_wmma_f32_16x16x128_bf8_fp8 v[16:23], v[0:15], v[8:23], v[16:23] matrix_a_reuse ; encoding: [0x10,0x20,0x82,0xcc,0x00,0x11,0x42,0x1c]
// WAVESIZE-ERR: :[[@LINE-3]]:1: error: instruction requires wavesize=32

v_wmma_f32_16x16x128_bf8_fp8 v[16:23], v[0:15], v[8:23], v[16:23] matrix_b_reuse
// GFX12-ERR: :[[@LINE-1]]:1: error: instruction not supported on this GPU (gfx1200): v_wmma_f32_16x16x128_bf8_fp8
// GFX1250: v_wmma_f32_16x16x128_bf8_fp8 v[16:23], v[0:15], v[8:23], v[16:23] matrix_b_reuse ; encoding: [0x10,0x40,0x82,0xcc,0x00,0x11,0x42,0x1c]
// WAVESIZE-ERR: :[[@LINE-3]]:1: error: instruction requires wavesize=32

v_wmma_f32_16x16x128_bf8_bf8 v[16:23], v[0:15], v[8:23], v[16:23]
// GFX12-ERR: :[[@LINE-1]]:1: error: instruction not supported on this GPU (gfx1200): v_wmma_f32_16x16x128_bf8_bf8
// GFX1250: v_wmma_f32_16x16x128_bf8_bf8 v[16:23], v[0:15], v[8:23], v[16:23] ; encoding: [0x10,0x00,0x83,0xcc,0x00,0x11,0x42,0x1c]
// WAVESIZE-ERR: :[[@LINE-3]]:1: error: instruction requires wavesize=32

v_wmma_f32_16x16x128_bf8_bf8 v[16:23], v[0:15], v[8:23], 1.0
// GFX12-ERR: :[[@LINE-1]]:1: error: instruction not supported on this GPU (gfx1200): v_wmma_f32_16x16x128_bf8_bf8
// GFX1250: v_wmma_f32_16x16x128_bf8_bf8 v[16:23], v[0:15], v[8:23], 1.0 ; encoding: [0x10,0x00,0x83,0xcc,0x00,0x11,0xca,0x1b]
// WAVESIZE-ERR: :[[@LINE-3]]:1: error: instruction requires wavesize=32

v_wmma_f32_16x16x128_bf8_bf8 v[16:23], v[0:15], v[8:23], 1.0 neg_lo:[0,0,1]
// GFX12-ERR: :[[@LINE-1]]:1: error: instruction not supported on this GPU (gfx1200): v_wmma_f32_16x16x128_bf8_bf8
// GFX1250: v_wmma_f32_16x16x128_bf8_bf8 v[16:23], v[0:15], v[8:23], 1.0 neg_lo:[0,0,1] ; encoding: [0x10,0x00,0x83,0xcc,0x00,0x11,0xca,0x9b]
// WAVESIZE-ERR: :[[@LINE-3]]:1: error: instruction requires wavesize=32

v_wmma_f32_16x16x128_bf8_bf8 v[16:23], v[0:15], v[8:23], v[16:23] neg_lo:[0,0,1]
// GFX12-ERR: :[[@LINE-1]]:1: error: instruction not supported on this GPU (gfx1200): v_wmma_f32_16x16x128_bf8_bf8
// GFX1250: v_wmma_f32_16x16x128_bf8_bf8 v[16:23], v[0:15], v[8:23], v[16:23] neg_lo:[0,0,1] ; encoding: [0x10,0x00,0x83,0xcc,0x00,0x11,0x42,0x9c]
// WAVESIZE-ERR: :[[@LINE-3]]:1: error: instruction requires wavesize=32

v_wmma_f32_16x16x128_bf8_bf8 v[16:23], v[0:15], v[8:23], v[16:23] neg_hi:[0,0,1]
// GFX12-ERR: :[[@LINE-1]]:1: error: instruction not supported on this GPU (gfx1200): v_wmma_f32_16x16x128_bf8_bf8
// GFX1250: v_wmma_f32_16x16x128_bf8_bf8 v[16:23], v[0:15], v[8:23], v[16:23] neg_hi:[0,0,1] ; encoding: [0x10,0x04,0x83,0xcc,0x00,0x11,0x42,0x1c]
// WAVESIZE-ERR: :[[@LINE-3]]:1: error: instruction requires wavesize=32

v_wmma_f32_16x16x128_bf8_bf8 v[16:23], v[0:15], v[8:23], v[16:23] matrix_a_reuse
// GFX12-ERR: :[[@LINE-1]]:1: error: instruction not supported on this GPU (gfx1200): v_wmma_f32_16x16x128_bf8_bf8
// GFX1250: v_wmma_f32_16x16x128_bf8_bf8 v[16:23], v[0:15], v[8:23], v[16:23] matrix_a_reuse ; encoding: [0x10,0x20,0x83,0xcc,0x00,0x11,0x42,0x1c]
// WAVESIZE-ERR: :[[@LINE-3]]:1: error: instruction requires wavesize=32

v_wmma_f32_16x16x128_bf8_bf8 v[16:23], v[0:15], v[8:23], v[16:23] matrix_b_reuse
// GFX12-ERR: :[[@LINE-1]]:1: error: instruction not supported on this GPU (gfx1200): v_wmma_f32_16x16x128_bf8_bf8
// GFX1250: v_wmma_f32_16x16x128_bf8_bf8 v[16:23], v[0:15], v[8:23], v[16:23] matrix_b_reuse ; encoding: [0x10,0x40,0x83,0xcc,0x00,0x11,0x42,0x1c]
// WAVESIZE-ERR: :[[@LINE-3]]:1: error: instruction requires wavesize=32

v_wmma_f32_32x16x128_f4 v[4:19], v[0:15], v[2:9], v[4:19]
// GFX12-ERR: :[[@LINE-1]]:1: error: instruction not supported on this GPU (gfx1200): v_wmma_f32_32x16x128_f4
// GFX1250: v_wmma_f32_32x16x128_f4 v[4:19], v[0:15], v[2:9], v[4:19] ; encoding: [0x04,0x40,0x88,0xcc,0x00,0x05,0x12,0x1c]
// WAVESIZE-ERR: :[[@LINE-3]]:1: error: instruction requires wavesize=32

v_wmma_f32_32x16x128_f4 v[4:19], v[0:15], v[2:9], 1.0
// GFX12-ERR: :[[@LINE-1]]:1: error: instruction not supported on this GPU (gfx1200): v_wmma_f32_32x16x128_f4
// GFX1250: v_wmma_f32_32x16x128_f4 v[4:19], v[0:15], v[2:9], 1.0 ; encoding: [0x04,0x40,0x88,0xcc,0x00,0x05,0xca,0x1b]
// WAVESIZE-ERR: :[[@LINE-3]]:1: error: instruction requires wavesize=32

v_wmma_f32_32x16x128_f4 v[4:19], v[0:15], v[2:9], 1.0 neg_lo:[0,0,1]
// GFX12-ERR: :[[@LINE-1]]:1: error: instruction not supported on this GPU (gfx1200): v_wmma_f32_32x16x128_f4
// GFX1250: v_wmma_f32_32x16x128_f4 v[4:19], v[0:15], v[2:9], 1.0 neg_lo:[0,0,1] ; encoding: [0x04,0x40,0x88,0xcc,0x00,0x05,0xca,0x9b]
// WAVESIZE-ERR: :[[@LINE-3]]:1: error: instruction requires wavesize=32

v_wmma_f32_32x16x128_f4 v[4:19], v[0:15], v[2:9], v[4:19] neg_lo:[0,0,1]
// GFX12-ERR: :[[@LINE-1]]:1: error: instruction not supported on this GPU (gfx1200): v_wmma_f32_32x16x128_f4
// GFX1250: v_wmma_f32_32x16x128_f4 v[4:19], v[0:15], v[2:9], v[4:19] neg_lo:[0,0,1] ; encoding: [0x04,0x40,0x88,0xcc,0x00,0x05,0x12,0x9c]
// WAVESIZE-ERR: :[[@LINE-3]]:1: error: instruction requires wavesize=32

v_wmma_f32_32x16x128_f4 v[4:19], v[0:15], v[2:9], v[4:19] neg_hi:[0,0,1]
// GFX12-ERR: :[[@LINE-1]]:1: error: instruction not supported on this GPU (gfx1200): v_wmma_f32_32x16x128_f4
// GFX1250: v_wmma_f32_32x16x128_f4 v[4:19], v[0:15], v[2:9], v[4:19] neg_hi:[0,0,1] ; encoding: [0x04,0x44,0x88,0xcc,0x00,0x05,0x12,0x1c]
// WAVESIZE-ERR: :[[@LINE-3]]:1: error: instruction requires wavesize=32

v_wmma_f32_32x16x128_f4 v[4:19], v[0:15], v[2:9], v[4:19] neg_lo:[0,0,1] neg_hi:[0,0,1]
// GFX12-ERR: :[[@LINE-1]]:1: error: instruction not supported on this GPU (gfx1200): v_wmma_f32_32x16x128_f4
// GFX1250: v_wmma_f32_32x16x128_f4 v[4:19], v[0:15], v[2:9], v[4:19] neg_lo:[0,0,1] neg_hi:[0,0,1] ; encoding: [0x04,0x44,0x88,0xcc,0x00,0x05,0x12,0x9c]
// WAVESIZE-ERR: :[[@LINE-3]]:1: error: instruction requires wavesize=32

v_wmma_scale_f32_32x16x128_f4 v[0:15], v[8:23], v[24:31], v[40:55], v1, v2 matrix_a_scale:MATRIX_SCALE_ROW1 matrix_b_scale:MATRIX_SCALE_ROW1 neg_lo:[0,0,1] neg_hi:[0,0,1]
// GFX12-ERR: :[[@LINE-1]]:1: error: instruction not supported on this GPU (gfx1200): v_wmma_scale_f32_32x16x128_f4
// GFX1250: v_wmma_scale_f32_32x16x128_f4 v[0:15], v[8:23], v[24:31], v[40:55], v1, v2 matrix_a_scale:MATRIX_SCALE_ROW1 matrix_b_scale:MATRIX_SCALE_ROW1 neg_lo:[0,0,1] neg_hi:[0,0,1] ; encoding: [0x00,0x08,0x35,0xcc,0x01,0x05,0x02,0x0a,0x00,0x44,0x88,0xcc,0x08,0x31,0xa2,0x9c]
// WAVESIZE-ERR: :[[@LINE-3]]:1: error: instruction requires wavesize=32

v_wmma_scale_f32_32x16x128_f4 v[0:15], v[8:23], v[24:31], v[40:55], s1, s2 matrix_a_scale:MATRIX_SCALE_ROW1 matrix_b_scale:MATRIX_SCALE_ROW1 matrix_a_reuse matrix_b_reuse neg_lo:[0,0,1] neg_hi:[0,0,1]
// GFX12-ERR: :[[@LINE-1]]:1: error: instruction not supported on this GPU (gfx1200): v_wmma_scale_f32_32x16x128_f4
// GFX1250: v_wmma_scale_f32_32x16x128_f4 v[0:15], v[8:23], v[24:31], v[40:55], s1, s2 matrix_a_scale:MATRIX_SCALE_ROW1 matrix_b_scale:MATRIX_SCALE_ROW1 matrix_a_reuse matrix_b_reuse neg_lo:[0,0,1] neg_hi:[0,0,1] ; encoding: [0x00,0x68,0x35,0xcc,0x01,0x04,0x00,0x0a,0x00,0x44,0x88,0xcc,0x08,0x31,0xa2,0x9c]
// WAVESIZE-ERR: :[[@LINE-3]]:1: error: instruction requires wavesize=32

v_wmma_scale_f32_32x16x128_f4 v[0:15], v[8:23], v[0:7], v[0:15], s0, s0
// GFX12-ERR: :[[@LINE-1]]:1: error: instruction not supported on this GPU (gfx1200): v_wmma_scale_f32_32x16x128_f4
// GFX1250: v_wmma_scale_f32_32x16x128_f4 v[0:15], v[8:23], v[0:7], v[0:15], s0, s0 ; encoding: [0x00,0x00,0x35,0xcc,0x00,0x00,0x00,0x02,0x00,0x40,0x88,0xcc,0x08,0x01,0x02,0x1c]
// WAVESIZE-ERR: :[[@LINE-3]]:1: error: instruction requires wavesize=32

v_wmma_scale_f32_32x16x128_f4 v[0:15], v[8:23], v[0:7], v[0:15], s0, s0 matrix_a_scale:MATRIX_SCALE_ROW0
// GFX12-ERR: :[[@LINE-1]]:1: error: instruction not supported on this GPU (gfx1200): v_wmma_scale_f32_32x16x128_f4
// GFX1250: v_wmma_scale_f32_32x16x128_f4 v[0:15], v[8:23], v[0:7], v[0:15], s0, s0 ; encoding: [0x00,0x00,0x35,0xcc,0x00,0x00,0x00,0x02,0x00,0x40,0x88,0xcc,0x08,0x01,0x02,0x1c]
// WAVESIZE-ERR: :[[@LINE-3]]:1: error: instruction requires wavesize=32

v_wmma_scale_f32_32x16x128_f4 v[0:15], v[8:23], v[0:7], v[0:15], s0, s0 matrix_a_scale:MATRIX_SCALE_ROW1
// GFX12-ERR: :[[@LINE-1]]:1: error: instruction not supported on this GPU (gfx1200): v_wmma_scale_f32_32x16x128_f4
// GFX1250: v_wmma_scale_f32_32x16x128_f4 v[0:15], v[8:23], v[0:7], v[0:15], s0, s0 matrix_a_scale:MATRIX_SCALE_ROW1 ; encoding: [0x00,0x08,0x35,0xcc,0x00,0x00,0x00,0x02,0x00,0x40,0x88,0xcc,0x08,0x01,0x02,0x1c]
// WAVESIZE-ERR: :[[@LINE-3]]:1: error: instruction requires wavesize=32

v_wmma_scale_f32_32x16x128_f4 v[0:15], v[8:23], v[0:7], v[0:15], s0, s0 matrix_a_reuse
// GFX12-ERR: :[[@LINE-1]]:1: error: instruction not supported on this GPU (gfx1200): v_wmma_scale_f32_32x16x128_f4
// GFX1250: v_wmma_scale_f32_32x16x128_f4 v[0:15], v[8:23], v[0:7], v[0:15], s0, s0 matrix_a_reuse ; encoding: [0x00,0x20,0x35,0xcc,0x00,0x00,0x00,0x02,0x00,0x40,0x88,0xcc,0x08,0x01,0x02,0x1c]
// WAVESIZE-ERR: :[[@LINE-3]]:1: error: instruction requires wavesize=32

v_wmma_scale_f32_32x16x128_f4 v[0:15], v[8:23], v[0:7], v[0:15], s0, s0 matrix_a_scale:MATRIX_SCALE_ROW1 matrix_a_reuse
// GFX12-ERR: :[[@LINE-1]]:1: error: instruction not supported on this GPU (gfx1200): v_wmma_scale_f32_32x16x128_f4
// GFX1250: v_wmma_scale_f32_32x16x128_f4 v[0:15], v[8:23], v[0:7], v[0:15], s0, s0 matrix_a_scale:MATRIX_SCALE_ROW1 matrix_a_reuse ; encoding: [0x00,0x28,0x35,0xcc,0x00,0x00,0x00,0x02,0x00,0x40,0x88,0xcc,0x08,0x01,0x02,0x1c]
// WAVESIZE-ERR: :[[@LINE-3]]:1: error: instruction requires wavesize=32

v_wmma_scale_f32_32x16x128_f4 v[0:15], v[8:23], v[0:7], v[0:15], s0, s0 matrix_b_scale:MATRIX_SCALE_ROW0
// GFX12-ERR: :[[@LINE-1]]:1: error: instruction not supported on this GPU (gfx1200): v_wmma_scale_f32_32x16x128_f4
// GFX1250: v_wmma_scale_f32_32x16x128_f4 v[0:15], v[8:23], v[0:7], v[0:15], s0, s0 ; encoding: [0x00,0x00,0x35,0xcc,0x00,0x00,0x00,0x02,0x00,0x40,0x88,0xcc,0x08,0x01,0x02,0x1c]
// WAVESIZE-ERR: :[[@LINE-3]]:1: error: instruction requires wavesize=32

v_wmma_scale_f32_32x16x128_f4 v[0:15], v[8:23], v[0:7], v[0:15], s0, s0 matrix_b_scale:MATRIX_SCALE_ROW1
// GFX12-ERR: :[[@LINE-1]]:1: error: instruction not supported on this GPU (gfx1200): v_wmma_scale_f32_32x16x128_f4
// GFX1250: v_wmma_scale_f32_32x16x128_f4 v[0:15], v[8:23], v[0:7], v[0:15], s0, s0 matrix_b_scale:MATRIX_SCALE_ROW1 ; encoding: [0x00,0x00,0x35,0xcc,0x00,0x00,0x00,0x0a,0x00,0x40,0x88,0xcc,0x08,0x01,0x02,0x1c]
// WAVESIZE-ERR: :[[@LINE-3]]:1: error: instruction requires wavesize=32

v_wmma_scale_f32_32x16x128_f4 v[0:15], v[8:23], v[0:7], v[0:15], s0, s0 matrix_b_reuse
// GFX12-ERR: :[[@LINE-1]]:1: error: instruction not supported on this GPU (gfx1200): v_wmma_scale_f32_32x16x128_f4
// GFX1250: v_wmma_scale_f32_32x16x128_f4 v[0:15], v[8:23], v[0:7], v[0:15], s0, s0 matrix_b_reuse ; encoding: [0x00,0x40,0x35,0xcc,0x00,0x00,0x00,0x02,0x00,0x40,0x88,0xcc,0x08,0x01,0x02,0x1c]
// WAVESIZE-ERR: :[[@LINE-3]]:1: error: instruction requires wavesize=32

v_wmma_scale_f32_32x16x128_f4 v[0:15], v[8:23], v[0:7], v[0:15], s0, s0 matrix_b_scale:MATRIX_SCALE_ROW1 matrix_b_reuse
// GFX12-ERR: :[[@LINE-1]]:1: error: instruction not supported on this GPU (gfx1200): v_wmma_scale_f32_32x16x128_f4
// GFX1250: v_wmma_scale_f32_32x16x128_f4 v[0:15], v[8:23], v[0:7], v[0:15], s0, s0 matrix_b_scale:MATRIX_SCALE_ROW1 matrix_b_reuse ; encoding: [0x00,0x40,0x35,0xcc,0x00,0x00,0x00,0x0a,0x00,0x40,0x88,0xcc,0x08,0x01,0x02,0x1c]
// WAVESIZE-ERR: :[[@LINE-3]]:1: error: instruction requires wavesize=32

v_wmma_scale_f32_32x16x128_f4 v[0:15], v[8:23], v[24:31], v[40:55], v1, v2 matrix_a_scale_fmt:MATRIX_SCALE_FMT_E8 matrix_b_scale_fmt:MATRIX_SCALE_FMT_E8
// GFX12-ERR: :[[@LINE-1]]:1: error: instruction not supported on this GPU (gfx1200): v_wmma_scale_f32_32x16x128_f4
// GFX1250: v_wmma_scale_f32_32x16x128_f4 v[0:15], v[8:23], v[24:31], v[40:55], v1, v2 ; encoding: [0x00,0x00,0x35,0xcc,0x01,0x05,0x02,0x02,0x00,0x40,0x88,0xcc,0x08,0x31,0xa2,0x1c]
// WAVESIZE-ERR: :[[@LINE-3]]:1: error: instruction requires wavesize=32

v_wmma_scale_f32_32x16x128_f4 v[0:15], v[8:23], v[24:31], v[40:55], v1, v2 matrix_a_scale_fmt:MATRIX_SCALE_FMT_E5M3
// GFX12-ERR: :[[@LINE-1]]:1: error: instruction not supported on this GPU (gfx1200): v_wmma_scale_f32_32x16x128_f4
// GFX1250: v_wmma_scale_f32_32x16x128_f4 v[0:15], v[8:23], v[24:31], v[40:55], v1, v2 matrix_a_scale_fmt:MATRIX_SCALE_FMT_E5M3 ; encoding: [0x00,0x00,0x35,0xcc,0x01,0x05,0x02,0x22,0x00,0x40,0x88,0xcc,0x08,0x31,0xa2,0x1c]
// WAVESIZE-ERR: :[[@LINE-3]]:1: error: instruction requires wavesize=32

v_wmma_scale_f32_32x16x128_f4 v[0:15], v[8:23], v[24:31], v[40:55], v1, v2 matrix_a_scale_fmt:MATRIX_SCALE_FMT_E4M3
// GFX12-ERR: :[[@LINE-1]]:1: error: instruction not supported on this GPU (gfx1200): v_wmma_scale_f32_32x16x128_f4
// GFX1250: v_wmma_scale_f32_32x16x128_f4 v[0:15], v[8:23], v[24:31], v[40:55], v1, v2 matrix_a_scale_fmt:MATRIX_SCALE_FMT_E4M3 ; encoding: [0x00,0x00,0x35,0xcc,0x01,0x05,0x02,0x42,0x00,0x40,0x88,0xcc,0x08,0x31,0xa2,0x1c]
// WAVESIZE-ERR: :[[@LINE-3]]:1: error: instruction requires wavesize=32

v_wmma_scale_f32_32x16x128_f4 v[0:15], v[8:23], v[24:31], v[40:55], v1, v2 matrix_b_scale_fmt:MATRIX_SCALE_FMT_E5M3
// GFX12-ERR: :[[@LINE-1]]:1: error: instruction not supported on this GPU (gfx1200): v_wmma_scale_f32_32x16x128_f4
// GFX1250: v_wmma_scale_f32_32x16x128_f4 v[0:15], v[8:23], v[24:31], v[40:55], v1, v2 matrix_b_scale_fmt:MATRIX_SCALE_FMT_E5M3 ; encoding: [0x00,0x01,0x35,0xcc,0x01,0x05,0x02,0x02,0x00,0x40,0x88,0xcc,0x08,0x31,0xa2,0x1c]
// WAVESIZE-ERR: :[[@LINE-3]]:1: error: instruction requires wavesize=32

v_wmma_scale_f32_32x16x128_f4 v[0:15], v[8:23], v[24:31], v[40:55], v1, v2 matrix_b_scale_fmt:MATRIX_SCALE_FMT_E4M3
// GFX12-ERR: :[[@LINE-1]]:1: error: instruction not supported on this GPU (gfx1200): v_wmma_scale_f32_32x16x128_f4
// GFX1250: v_wmma_scale_f32_32x16x128_f4 v[0:15], v[8:23], v[24:31], v[40:55], v1, v2 matrix_b_scale_fmt:MATRIX_SCALE_FMT_E4M3 ; encoding: [0x00,0x02,0x35,0xcc,0x01,0x05,0x02,0x02,0x00,0x40,0x88,0xcc,0x08,0x31,0xa2,0x1c]
// WAVESIZE-ERR: :[[@LINE-3]]:1: error: instruction requires wavesize=32

v_wmma_scale_f32_32x16x128_f4 v[0:15], v[8:23], v[24:31], v[40:55], v1, v2 matrix_a_scale:MATRIX_SCALE_ROW1 matrix_b_scale:MATRIX_SCALE_ROW1 matrix_a_scale_fmt:MATRIX_SCALE_FMT_E8 matrix_b_scale_fmt:MATRIX_SCALE_FMT_E8 matrix_a_reuse matrix_b_reuse neg_lo:[0,0,1] neg_hi:[0,0,1]
// GFX12-ERR: :[[@LINE-1]]:1: error: instruction not supported on this GPU (gfx1200): v_wmma_scale_f32_32x16x128_f4
// GFX1250: v_wmma_scale_f32_32x16x128_f4 v[0:15], v[8:23], v[24:31], v[40:55], v1, v2 matrix_a_scale:MATRIX_SCALE_ROW1 matrix_b_scale:MATRIX_SCALE_ROW1 matrix_a_reuse matrix_b_reuse neg_lo:[0,0,1] neg_hi:[0,0,1] ; encoding: [0x00,0x68,0x35,0xcc,0x01,0x05,0x02,0x0a,0x00,0x44,0x88,0xcc,0x08,0x31,0xa2,0x9c]
// WAVESIZE-ERR: :[[@LINE-3]]:1: error: instruction requires wavesize=32

v_wmma_scale16_f32_32x16x128_f4 v[0:15], v[8:23], v[24:31], v[40:55], v[2:3], v[4:5] matrix_a_scale:MATRIX_SCALE_ROW1 matrix_b_scale:MATRIX_SCALE_ROW1 neg_lo:[0,0,1] neg_hi:[0,0,1]
// GFX12-ERR: :[[@LINE-1]]:1: error: instruction not supported on this GPU (gfx1200): v_wmma_scale16_f32_32x16x128_f4
// GFX1250: v_wmma_scale16_f32_32x16x128_f4 v[0:15], v[8:23], v[24:31], v[40:55], v[2:3], v[4:5] matrix_a_scale:MATRIX_SCALE_ROW1 matrix_b_scale:MATRIX_SCALE_ROW1 neg_lo:[0,0,1] neg_hi:[0,0,1] ; encoding: [0x00,0x08,0x3a,0xcc,0x02,0x09,0x02,0x0a,0x00,0x44,0x88,0xcc,0x08,0x31,0xa2,0x9c]
// WAVESIZE-ERR: :[[@LINE-3]]:1: error: instruction requires wavesize=32

v_wmma_scale16_f32_32x16x128_f4 v[0:15], v[8:23], v[24:31], v[40:55], s[2:3], s[4:5] matrix_a_scale:MATRIX_SCALE_ROW1 matrix_b_scale:MATRIX_SCALE_ROW1 matrix_a_reuse matrix_b_reuse neg_lo:[0,0,1] neg_hi:[0,0,1]
// GFX12-ERR: :[[@LINE-1]]:1: error: instruction not supported on this GPU (gfx1200): v_wmma_scale16_f32_32x16x128_f4
// GFX1250: v_wmma_scale16_f32_32x16x128_f4 v[0:15], v[8:23], v[24:31], v[40:55], s[2:3], s[4:5] matrix_a_scale:MATRIX_SCALE_ROW1 matrix_b_scale:MATRIX_SCALE_ROW1 matrix_a_reuse matrix_b_reuse neg_lo:[0,0,1] neg_hi:[0,0,1] ; encoding: [0x00,0x68,0x3a,0xcc,0x02,0x08,0x00,0x0a,0x00,0x44,0x88,0xcc,0x08,0x31,0xa2,0x9c]
// WAVESIZE-ERR: :[[@LINE-3]]:1: error: instruction requires wavesize=32

v_wmma_scale16_f32_32x16x128_f4 v[0:15], v[8:23], v[0:7], v[0:15], s[0:1], s[0:1]
// GFX12-ERR: :[[@LINE-1]]:1: error: instruction not supported on this GPU (gfx1200): v_wmma_scale16_f32_32x16x128_f4
// GFX1250: v_wmma_scale16_f32_32x16x128_f4 v[0:15], v[8:23], v[0:7], v[0:15], s[0:1], s[0:1] ; encoding: [0x00,0x00,0x3a,0xcc,0x00,0x00,0x00,0x02,0x00,0x40,0x88,0xcc,0x08,0x01,0x02,0x1c]
// WAVESIZE-ERR: :[[@LINE-3]]:1: error: instruction requires wavesize=32

v_wmma_scale16_f32_32x16x128_f4 v[0:15], v[8:23], v[0:7], v[0:15], s[0:1], s[0:1] matrix_a_scale:MATRIX_SCALE_ROW0
// GFX12-ERR: :[[@LINE-1]]:1: error: instruction not supported on this GPU (gfx1200): v_wmma_scale16_f32_32x16x128_f4
// GFX1250: v_wmma_scale16_f32_32x16x128_f4 v[0:15], v[8:23], v[0:7], v[0:15], s[0:1], s[0:1] ; encoding: [0x00,0x00,0x3a,0xcc,0x00,0x00,0x00,0x02,0x00,0x40,0x88,0xcc,0x08,0x01,0x02,0x1c]
// WAVESIZE-ERR: :[[@LINE-3]]:1: error: instruction requires wavesize=32

v_wmma_scale16_f32_32x16x128_f4 v[0:15], v[8:23], v[0:7], v[0:15], s[0:1], s[0:1] matrix_a_scale:MATRIX_SCALE_ROW1
// GFX12-ERR: :[[@LINE-1]]:1: error: instruction not supported on this GPU (gfx1200): v_wmma_scale16_f32_32x16x128_f4
// GFX1250: v_wmma_scale16_f32_32x16x128_f4 v[0:15], v[8:23], v[0:7], v[0:15], s[0:1], s[0:1] matrix_a_scale:MATRIX_SCALE_ROW1 ; encoding: [0x00,0x08,0x3a,0xcc,0x00,0x00,0x00,0x02,0x00,0x40,0x88,0xcc,0x08,0x01,0x02,0x1c]
// WAVESIZE-ERR: :[[@LINE-3]]:1: error: instruction requires wavesize=32

v_wmma_scale16_f32_32x16x128_f4 v[0:15], v[8:23], v[0:7], v[0:15], s[0:1], s[0:1] matrix_a_reuse
// GFX12-ERR: :[[@LINE-1]]:1: error: instruction not supported on this GPU (gfx1200): v_wmma_scale16_f32_32x16x128_f4
// GFX1250: v_wmma_scale16_f32_32x16x128_f4 v[0:15], v[8:23], v[0:7], v[0:15], s[0:1], s[0:1] matrix_a_reuse ; encoding: [0x00,0x20,0x3a,0xcc,0x00,0x00,0x00,0x02,0x00,0x40,0x88,0xcc,0x08,0x01,0x02,0x1c]
// WAVESIZE-ERR: :[[@LINE-3]]:1: error: instruction requires wavesize=32

v_wmma_scale16_f32_32x16x128_f4 v[0:15], v[8:23], v[0:7], v[0:15], s[0:1], s[0:1] matrix_a_scale:MATRIX_SCALE_ROW1 matrix_a_reuse
// GFX12-ERR: :[[@LINE-1]]:1: error: instruction not supported on this GPU (gfx1200): v_wmma_scale16_f32_32x16x128_f4
// GFX1250: v_wmma_scale16_f32_32x16x128_f4 v[0:15], v[8:23], v[0:7], v[0:15], s[0:1], s[0:1] matrix_a_scale:MATRIX_SCALE_ROW1 matrix_a_reuse ; encoding: [0x00,0x28,0x3a,0xcc,0x00,0x00,0x00,0x02,0x00,0x40,0x88,0xcc,0x08,0x01,0x02,0x1c]
// WAVESIZE-ERR: :[[@LINE-3]]:1: error: instruction requires wavesize=32

v_wmma_scale16_f32_32x16x128_f4 v[0:15], v[8:23], v[0:7], v[0:15], s[0:1], s[0:1] matrix_b_scale:MATRIX_SCALE_ROW0
// GFX12-ERR: :[[@LINE-1]]:1: error: instruction not supported on this GPU (gfx1200): v_wmma_scale16_f32_32x16x128_f4
// GFX1250: v_wmma_scale16_f32_32x16x128_f4 v[0:15], v[8:23], v[0:7], v[0:15], s[0:1], s[0:1] ; encoding: [0x00,0x00,0x3a,0xcc,0x00,0x00,0x00,0x02,0x00,0x40,0x88,0xcc,0x08,0x01,0x02,0x1c]
// WAVESIZE-ERR: :[[@LINE-3]]:1: error: instruction requires wavesize=32

v_wmma_scale16_f32_32x16x128_f4 v[0:15], v[8:23], v[0:7], v[0:15], s[0:1], s[0:1] matrix_b_scale:MATRIX_SCALE_ROW1
// GFX12-ERR: :[[@LINE-1]]:1: error: instruction not supported on this GPU (gfx1200): v_wmma_scale16_f32_32x16x128_f4
// GFX1250: v_wmma_scale16_f32_32x16x128_f4 v[0:15], v[8:23], v[0:7], v[0:15], s[0:1], s[0:1] matrix_b_scale:MATRIX_SCALE_ROW1 ; encoding: [0x00,0x00,0x3a,0xcc,0x00,0x00,0x00,0x0a,0x00,0x40,0x88,0xcc,0x08,0x01,0x02,0x1c]
// WAVESIZE-ERR: :[[@LINE-3]]:1: error: instruction requires wavesize=32

v_wmma_scale16_f32_32x16x128_f4 v[0:15], v[8:23], v[0:7], v[0:15], s[0:1], s[0:1] matrix_b_reuse
// GFX12-ERR: :[[@LINE-1]]:1: error: instruction not supported on this GPU (gfx1200): v_wmma_scale16_f32_32x16x128_f4
// GFX1250: v_wmma_scale16_f32_32x16x128_f4 v[0:15], v[8:23], v[0:7], v[0:15], s[0:1], s[0:1] matrix_b_reuse ; encoding: [0x00,0x40,0x3a,0xcc,0x00,0x00,0x00,0x02,0x00,0x40,0x88,0xcc,0x08,0x01,0x02,0x1c]
// WAVESIZE-ERR: :[[@LINE-3]]:1: error: instruction requires wavesize=32

v_wmma_scale16_f32_32x16x128_f4 v[0:15], v[8:23], v[0:7], v[0:15], s[0:1], s[0:1] matrix_b_scale:MATRIX_SCALE_ROW1 matrix_b_reuse
// GFX12-ERR: :[[@LINE-1]]:1: error: instruction not supported on this GPU (gfx1200): v_wmma_scale16_f32_32x16x128_f4
// GFX1250: v_wmma_scale16_f32_32x16x128_f4 v[0:15], v[8:23], v[0:7], v[0:15], s[0:1], s[0:1] matrix_b_scale:MATRIX_SCALE_ROW1 matrix_b_reuse ; encoding: [0x00,0x40,0x3a,0xcc,0x00,0x00,0x00,0x0a,0x00,0x40,0x88,0xcc,0x08,0x01,0x02,0x1c]
// WAVESIZE-ERR: :[[@LINE-3]]:1: error: instruction requires wavesize=32

v_wmma_scale16_f32_32x16x128_f4 v[0:15], v[8:23], v[24:31], v[40:55], v[2:3], v[4:5] matrix_a_scale_fmt:MATRIX_SCALE_FMT_E8 matrix_b_scale_fmt:MATRIX_SCALE_FMT_E8
// GFX12-ERR: :[[@LINE-1]]:1: error: instruction not supported on this GPU (gfx1200): v_wmma_scale16_f32_32x16x128_f4
// GFX1250: v_wmma_scale16_f32_32x16x128_f4 v[0:15], v[8:23], v[24:31], v[40:55], v[2:3], v[4:5] ; encoding: [0x00,0x00,0x3a,0xcc,0x02,0x09,0x02,0x02,0x00,0x40,0x88,0xcc,0x08,0x31,0xa2,0x1c]
// WAVESIZE-ERR: :[[@LINE-3]]:1: error: instruction requires wavesize=32

v_wmma_scale16_f32_32x16x128_f4 v[0:15], v[8:23], v[24:31], v[40:55], v[2:3], v[4:5] matrix_a_scale_fmt:MATRIX_SCALE_FMT_E5M3
// GFX12-ERR: :[[@LINE-1]]:1: error: instruction not supported on this GPU (gfx1200): v_wmma_scale16_f32_32x16x128_f4
// GFX1250: v_wmma_scale16_f32_32x16x128_f4 v[0:15], v[8:23], v[24:31], v[40:55], v[2:3], v[4:5] matrix_a_scale_fmt:MATRIX_SCALE_FMT_E5M3 ; encoding: [0x00,0x00,0x3a,0xcc,0x02,0x09,0x02,0x22,0x00,0x40,0x88,0xcc,0x08,0x31,0xa2,0x1c]
// WAVESIZE-ERR: :[[@LINE-3]]:1: error: instruction requires wavesize=32

v_wmma_scale16_f32_32x16x128_f4 v[0:15], v[8:23], v[24:31], v[40:55], v[2:3], v[4:5] matrix_a_scale_fmt:MATRIX_SCALE_FMT_E4M3
// GFX12-ERR: :[[@LINE-1]]:1: error: instruction not supported on this GPU (gfx1200): v_wmma_scale16_f32_32x16x128_f4
// GFX1250: v_wmma_scale16_f32_32x16x128_f4 v[0:15], v[8:23], v[24:31], v[40:55], v[2:3], v[4:5] matrix_a_scale_fmt:MATRIX_SCALE_FMT_E4M3 ; encoding: [0x00,0x00,0x3a,0xcc,0x02,0x09,0x02,0x42,0x00,0x40,0x88,0xcc,0x08,0x31,0xa2,0x1c]
// WAVESIZE-ERR: :[[@LINE-3]]:1: error: instruction requires wavesize=32

v_wmma_scale16_f32_32x16x128_f4 v[0:15], v[8:23], v[24:31], v[40:55], v[2:3], v[4:5] matrix_b_scale_fmt:MATRIX_SCALE_FMT_E5M3
// GFX12-ERR: :[[@LINE-1]]:1: error: instruction not supported on this GPU (gfx1200): v_wmma_scale16_f32_32x16x128_f4
// GFX1250: v_wmma_scale16_f32_32x16x128_f4 v[0:15], v[8:23], v[24:31], v[40:55], v[2:3], v[4:5] matrix_b_scale_fmt:MATRIX_SCALE_FMT_E5M3 ; encoding: [0x00,0x01,0x3a,0xcc,0x02,0x09,0x02,0x02,0x00,0x40,0x88,0xcc,0x08,0x31,0xa2,0x1c]
// WAVESIZE-ERR: :[[@LINE-3]]:1: error: instruction requires wavesize=32

v_wmma_scale16_f32_32x16x128_f4 v[0:15], v[8:23], v[24:31], v[40:55], v[2:3], v[4:5] matrix_b_scale_fmt:MATRIX_SCALE_FMT_E4M3
// GFX12-ERR: :[[@LINE-1]]:1: error: instruction not supported on this GPU (gfx1200): v_wmma_scale16_f32_32x16x128_f4
// GFX1250: v_wmma_scale16_f32_32x16x128_f4 v[0:15], v[8:23], v[24:31], v[40:55], v[2:3], v[4:5] matrix_b_scale_fmt:MATRIX_SCALE_FMT_E4M3 ; encoding: [0x00,0x02,0x3a,0xcc,0x02,0x09,0x02,0x02,0x00,0x40,0x88,0xcc,0x08,0x31,0xa2,0x1c]
// WAVESIZE-ERR: :[[@LINE-3]]:1: error: instruction requires wavesize=32

v_wmma_scale16_f32_32x16x128_f4 v[0:15], v[8:23], v[24:31], v[40:55], v[2:3], v[4:5] matrix_a_scale:MATRIX_SCALE_ROW1 matrix_b_scale:MATRIX_SCALE_ROW1 matrix_a_scale_fmt:MATRIX_SCALE_FMT_E8 matrix_b_scale_fmt:MATRIX_SCALE_FMT_E8 matrix_a_reuse matrix_b_reuse neg_lo:[0,0,1] neg_hi:[0,0,1]
// GFX12-ERR: :[[@LINE-1]]:1: error: instruction not supported on this GPU (gfx1200): v_wmma_scale16_f32_32x16x128_f4
// GFX1250: v_wmma_scale16_f32_32x16x128_f4 v[0:15], v[8:23], v[24:31], v[40:55], v[2:3], v[4:5] matrix_a_scale:MATRIX_SCALE_ROW1 matrix_b_scale:MATRIX_SCALE_ROW1 matrix_a_reuse matrix_b_reuse neg_lo:[0,0,1] neg_hi:[0,0,1] ; encoding: [0x00,0x68,0x3a,0xcc,0x02,0x09,0x02,0x0a,0x00,0x44,0x88,0xcc,0x08,0x31,0xa2,0x9c]
// WAVESIZE-ERR: :[[@LINE-3]]:1: error: instruction requires wavesize=32
